;; amdgpu-corpus repo=ggml-org/llama.cpp kind=compiled arch=gfx906 opt=O3
	.amdgcn_target "amdgcn-amd-amdhsa--gfx906"
	.amdhsa_code_object_version 6
	.section	.text._ZL9rope_neoxILb1ELb0EffEvPKT1_PT2_iiiiiiiiiiPKifff14rope_corr_dimsfPKfPKli,"axG",@progbits,_ZL9rope_neoxILb1ELb0EffEvPKT1_PT2_iiiiiiiiiiPKifff14rope_corr_dimsfPKfPKli,comdat
	.globl	_ZL9rope_neoxILb1ELb0EffEvPKT1_PT2_iiiiiiiiiiPKifff14rope_corr_dimsfPKfPKli ; -- Begin function _ZL9rope_neoxILb1ELb0EffEvPKT1_PT2_iiiiiiiiiiPKifff14rope_corr_dimsfPKfPKli
	.p2align	8
	.type	_ZL9rope_neoxILb1ELb0EffEvPKT1_PT2_iiiiiiiiiiPKifff14rope_corr_dimsfPKfPKli,@function
_ZL9rope_neoxILb1ELb0EffEvPKT1_PT2_iiiiiiiiiiPKifff14rope_corr_dimsfPKfPKli: ; @_ZL9rope_neoxILb1ELb0EffEvPKT1_PT2_iiiiiiiiiiPKifff14rope_corr_dimsfPKfPKli
; %bb.0:
	s_load_dword s2, s[4:5], 0x7c
	s_load_dwordx8 s[8:15], s[4:5], 0x10
	s_add_u32 s0, s4, 0x70
	s_addc_u32 s1, s5, 0
	s_waitcnt lgkmcnt(0)
	s_lshr_b32 s2, s2, 16
	s_mul_i32 s7, s7, s2
	v_add_lshl_u32 v5, s7, v1, 1
	v_cmp_gt_i32_e32 vcc, s8, v5
	s_and_saveexec_b64 s[2:3], vcc
	s_cbranch_execz .LBB0_19
; %bb.1:
	s_mul_i32 s2, s10, s9
	s_abs_i32 s3, s2
	v_cvt_f32_u32_e32 v1, s3
	s_load_dword s0, s[0:1], 0xc
	s_sub_i32 s1, 0, s3
	v_cvt_f32_u32_e32 v2, s9
	v_rcp_iflag_f32_e32 v1, v1
	s_waitcnt lgkmcnt(0)
	s_and_b32 s0, s0, 0xffff
	s_mul_i32 s6, s6, s0
	v_mul_f32_e32 v1, 0x4f7ffffe, v1
	v_cvt_u32_f32_e32 v1, v1
	v_add_u32_e32 v0, s6, v0
	v_sub_u32_e32 v4, 0, v0
	v_max_i32_e32 v4, v0, v4
	v_mul_lo_u32 v3, s1, v1
	v_rcp_iflag_f32_e32 v2, v2
	s_sub_i32 s0, 0, s9
	v_xor_b32_e32 v6, s2, v0
	v_mul_hi_u32 v3, v1, v3
	v_mul_f32_e32 v2, 0x4f7ffffe, v2
	v_cvt_u32_f32_e32 v2, v2
	v_ashrrev_i32_e32 v6, 31, v6
	v_add_u32_e32 v1, v1, v3
	v_mul_hi_u32 v1, v4, v1
	v_mul_lo_u32 v3, s0, v2
	s_load_dword s0, s[4:5], 0x68
	s_load_dwordx2 s[6:7], s[4:5], 0x30
	v_mul_lo_u32 v7, v1, s3
	v_add_u32_e32 v8, 1, v1
	v_mul_hi_u32 v3, v2, v3
	s_waitcnt lgkmcnt(0)
	s_cmp_eq_u32 s0, 0
	v_sub_u32_e32 v4, v4, v7
	v_cmp_le_u32_e32 vcc, s3, v4
	v_subrev_u32_e32 v7, s3, v4
	v_cndmask_b32_e32 v1, v1, v8, vcc
	v_cndmask_b32_e32 v4, v4, v7, vcc
	v_add_u32_e32 v7, 1, v1
	v_cmp_le_u32_e32 vcc, s3, v4
	v_cndmask_b32_e32 v1, v1, v7, vcc
	v_xor_b32_e32 v1, v1, v6
	v_sub_u32_e32 v6, v1, v6
	v_mul_lo_u32 v1, s2, v6
	v_add_u32_e32 v2, v2, v3
	v_sub_u32_e32 v7, v0, v1
	v_mul_hi_u32 v0, v7, v2
	v_mul_lo_u32 v1, v0, s9
	v_add_u32_e32 v2, 1, v0
	v_sub_u32_e32 v1, v7, v1
	v_cmp_le_u32_e32 vcc, s9, v1
	v_cndmask_b32_e32 v0, v0, v2, vcc
	v_subrev_u32_e32 v2, s9, v1
	v_cndmask_b32_e32 v1, v1, v2, vcc
	v_add_u32_e32 v2, 1, v0
	v_cmp_le_u32_e32 vcc, s9, v1
	v_cndmask_b32_e32 v3, v0, v2, vcc
	s_cbranch_scc1 .LBB0_3
; %bb.2:
	s_load_dwordx2 s[2:3], s[4:5], 0x60
	v_mov_b32_e32 v4, 0
	v_lshlrev_b64 v[0:1], 3, v[3:4]
	s_waitcnt lgkmcnt(0)
	v_mov_b32_e32 v2, s3
	v_add_co_u32_e32 v0, vcc, s2, v0
	v_addc_co_u32_e32 v1, vcc, v2, v1, vcc
	global_load_dword v0, v[0:1], off
	s_waitcnt vmcnt(0)
	v_mul_lo_u32 v0, s0, v0
	s_branch .LBB0_4
.LBB0_3:
	v_mul_lo_u32 v0, v6, s6
	v_mad_u64_u32 v[0:1], s[0:1], v3, s15, v[0:1]
.LBB0_4:
	v_mul_lo_u32 v1, v3, s9
	v_ashrrev_i32_e32 v2, 1, v5
	v_mul_lo_u32 v4, v3, s12
	v_cmp_le_i32_e32 vcc, s7, v5
	v_sub_u32_e32 v1, v7, v1
	v_mad_u64_u32 v[6:7], s[0:1], v6, s13, v[2:3]
	v_mul_lo_u32 v8, v1, s11
	v_mul_lo_u32 v7, v1, s14
	s_load_dwordx4 s[8:11], s[4:5], 0x0
	v_add3_u32 v1, v6, v4, v8
	v_add3_u32 v0, v7, v2, v0
	s_and_saveexec_b64 s[0:1], vcc
	s_xor_b64 s[0:1], exec, s[0:1]
	s_cbranch_execz .LBB0_6
; %bb.5:
	v_add_u32_e32 v3, v1, v2
	v_ashrrev_i32_e32 v4, 31, v3
	v_lshlrev_b64 v[3:4], 2, v[3:4]
	s_waitcnt lgkmcnt(0)
	v_mov_b32_e32 v1, s9
	v_add_co_u32_e32 v3, vcc, s8, v3
	v_addc_co_u32_e32 v4, vcc, v1, v4, vcc
	global_load_dword v5, v[3:4], off
	v_add_u32_e32 v0, v0, v2
	v_ashrrev_i32_e32 v1, 31, v0
	v_lshlrev_b64 v[0:1], 2, v[0:1]
	v_mov_b32_e32 v2, s11
	v_add_co_u32_e32 v0, vcc, s10, v0
	v_addc_co_u32_e32 v1, vcc, v2, v1, vcc
	s_waitcnt vmcnt(0)
	global_store_dword v[0:1], v5, off
	global_load_dword v2, v[3:4], off offset:4
                                        ; implicit-def: $vgpr3
                                        ; implicit-def: $vgpr5
	s_waitcnt vmcnt(0)
	global_store_dword v[0:1], v2, off offset:4
                                        ; implicit-def: $vgpr1
                                        ; implicit-def: $vgpr0
                                        ; implicit-def: $vgpr2
.LBB0_6:
	s_andn2_saveexec_b64 s[0:1], s[0:1]
	s_cbranch_execz .LBB0_19
; %bb.7:
	s_load_dwordx2 s[0:1], s[4:5], 0x38
	v_mov_b32_e32 v4, 0
	v_lshlrev_b64 v[3:4], 2, v[3:4]
	v_mov_b32_e32 v9, 0x3ecccdef
	s_brev_b32 s6, -2
	s_waitcnt lgkmcnt(0)
	v_mov_b32_e32 v6, s1
	v_add_co_u32_e32 v3, vcc, s0, v3
	v_addc_co_u32_e32 v4, vcc, v6, v4, vcc
	global_load_dword v6, v[3:4], off
	s_load_dwordx4 s[12:15], s[4:5], 0x40
	s_load_dwordx2 s[16:17], s[4:5], 0x50
	v_cvt_f32_i32_e32 v3, v5
	s_mov_b32 s0, 0x3f2aaaab
	v_mov_b32_e32 v5, 0x3e91f4c4
	s_mov_b32 s1, 0x3f317218
	v_mul_f32_e32 v3, 0.5, v3
	s_waitcnt lgkmcnt(0)
	v_cmp_neq_f32_e64 vcc, s17, 1.0
	v_cndmask_b32_e32 v4, 1.0, v3, vcc
	v_mov_b32_e32 v3, s17
	v_cmp_neq_f32_e32 vcc, 0, v4
	v_cndmask_b32_e32 v3, 1.0, v3, vcc
	v_frexp_mant_f32_e64 v10, |v3|
	v_cmp_gt_f32_e32 vcc, s0, v10
	v_cndmask_b32_e64 v11, 1.0, 2.0, vcc
	v_mul_f32_e32 v10, v10, v11
	v_add_f32_e32 v12, 1.0, v10
	v_cvt_f64_f32_e64 v[7:8], |v3|
	v_rcp_f32_e32 v13, v12
	v_add_f32_e32 v11, -1.0, v10
	v_add_f32_e32 v14, -1.0, v12
	v_frexp_exp_i32_f64_e32 v7, v[7:8]
	v_sub_f32_e32 v8, v10, v14
	v_mul_f32_e32 v10, v11, v13
	v_mul_f32_e32 v14, v12, v10
	v_fma_f32 v12, v10, v12, -v14
	v_fmac_f32_e32 v12, v10, v8
	v_add_f32_e32 v8, v14, v12
	v_sub_f32_e32 v15, v11, v8
	v_sub_f32_e32 v14, v8, v14
	;; [unrolled: 1-line block ×5, first 2 shown]
	v_add_f32_e32 v8, v12, v8
	v_add_f32_e32 v8, v15, v8
	v_mul_f32_e32 v8, v13, v8
	v_add_f32_e32 v12, v10, v8
	v_sub_f32_e32 v10, v12, v10
	v_mul_f32_e32 v13, v12, v12
	v_sub_f32_e32 v8, v8, v10
	v_fma_f32 v10, v12, v12, -v13
	v_add_f32_e32 v14, v8, v8
	v_fmac_f32_e32 v10, v12, v14
	v_add_f32_e32 v14, v13, v10
	v_fmac_f32_e32 v5, 0x3e76c4e1, v14
	v_sub_f32_e32 v13, v14, v13
	v_mul_f32_e32 v15, v12, v14
	v_fmac_f32_e32 v9, v14, v5
	v_sub_f32_e32 v5, v10, v13
	v_fma_f32 v10, v14, v12, -v15
	v_fmac_f32_e32 v10, v14, v8
	v_mul_f32_e32 v13, v14, v9
	v_fmac_f32_e32 v10, v5, v12
	v_fma_f32 v14, v14, v9, -v13
	v_add_f32_e32 v16, v15, v10
	v_fmac_f32_e32 v14, v5, v9
	v_sub_f32_e32 v5, v16, v15
	v_add_f32_e32 v9, v13, v14
	v_sub_f32_e32 v5, v10, v5
	v_add_f32_e32 v10, 0x3f2aaaaa, v9
	v_sub_f32_e32 v13, v9, v13
	v_sub_f32_e32 v13, v14, v13
	v_add_f32_e32 v14, 0xbf2aaaaa, v10
	v_subbrev_co_u32_e32 v7, vcc, 0, v7, vcc
	v_add_f32_e32 v13, 0x31739010, v13
	v_sub_f32_e32 v9, v9, v14
	v_cvt_f32_i32_e32 v7, v7
	v_add_f32_e32 v9, v13, v9
	v_add_f32_e32 v13, v10, v9
	v_sub_f32_e32 v10, v10, v13
	v_mul_f32_e32 v14, v16, v13
	v_add_f32_e32 v9, v9, v10
	v_fma_f32 v10, v16, v13, -v14
	v_mul_f32_e32 v11, 0x3f317218, v7
	v_fmac_f32_e32 v10, v16, v9
	v_fmac_f32_e32 v10, v5, v13
	s_movk_i32 s5, 0x204
	s_mov_b32 s0, 0x42b17218
	s_mov_b32 s4, 0x7f800000
	s_waitcnt vmcnt(0)
	v_cvt_f32_i32_e32 v5, v6
	v_fma_f32 v6, v7, s1, -v11
	v_fmac_f32_e32 v6, 0xb102e308, v7
	v_add_f32_e32 v9, v11, v6
	v_sub_f32_e32 v11, v9, v11
	v_sub_f32_e32 v6, v6, v11
	v_add_f32_e32 v11, v14, v10
	v_ldexp_f32 v7, v8, 1
	v_ldexp_f32 v8, v12, 1
	v_sub_f32_e32 v12, v11, v14
	v_sub_f32_e32 v10, v10, v12
	v_add_f32_e32 v12, v8, v11
	v_sub_f32_e32 v8, v12, v8
	v_sub_f32_e32 v8, v11, v8
	v_add_f32_e32 v7, v7, v10
	v_add_f32_e32 v7, v7, v8
	;; [unrolled: 1-line block ×3, first 2 shown]
	v_sub_f32_e32 v10, v8, v12
	v_sub_f32_e32 v7, v7, v10
	v_add_f32_e32 v10, v9, v8
	v_sub_f32_e32 v11, v10, v9
	v_sub_f32_e32 v12, v10, v11
	;; [unrolled: 1-line block ×4, first 2 shown]
	v_add_f32_e32 v8, v8, v9
	v_add_f32_e32 v9, v6, v7
	v_sub_f32_e32 v11, v9, v6
	v_sub_f32_e32 v12, v9, v11
	;; [unrolled: 1-line block ×4, first 2 shown]
	v_add_f32_e32 v6, v7, v6
	v_add_f32_e32 v7, v9, v8
	;; [unrolled: 1-line block ×3, first 2 shown]
	v_sub_f32_e32 v9, v8, v10
	v_sub_f32_e32 v7, v7, v9
	v_add_f32_e32 v6, v6, v7
	v_add_f32_e32 v7, v8, v6
	v_sub_f32_e32 v8, v7, v8
	v_sub_f32_e32 v6, v6, v8
	v_mul_f32_e32 v8, v4, v7
	v_fma_f32 v7, v4, v7, -v8
	v_fmac_f32_e32 v7, v4, v6
	v_add_f32_e32 v6, v8, v7
	v_cmp_class_f32_e64 vcc, v8, s5
	v_sub_f32_e32 v9, v6, v8
	v_cndmask_b32_e32 v6, v6, v8, vcc
	v_mov_b32_e32 v8, 0x37000000
	v_cmp_eq_f32_e32 vcc, s0, v6
	v_cndmask_b32_e32 v8, 0, v8, vcc
	v_sub_f32_e32 v7, v7, v9
	v_sub_f32_e32 v9, v6, v8
	s_mov_b32 s1, 0x3fb8aa3b
	v_mul_f32_e32 v10, 0x3fb8aa3b, v9
	v_fma_f32 v11, v9, s1, -v10
	v_rndne_f32_e32 v12, v10
	v_fmac_f32_e32 v11, 0x32a5705f, v9
	v_sub_f32_e32 v10, v10, v12
	v_add_f32_e32 v10, v10, v11
	v_exp_f32_e32 v10, v10
	v_cvt_i32_f32_e32 v11, v12
	v_cmp_neq_f32_e64 vcc, |v6|, s4
	s_mov_b32 s1, 0xc2ce8ed0
	v_cndmask_b32_e32 v6, 0, v7, vcc
	v_ldexp_f32 v7, v10, v11
	v_cmp_ngt_f32_e32 vcc, s1, v9
	v_add_f32_e32 v6, v8, v6
	v_cndmask_b32_e32 v7, 0, v7, vcc
	v_mov_b32_e32 v8, 0x7f800000
	v_cmp_nlt_f32_e32 vcc, s0, v9
	v_cndmask_b32_e32 v7, v8, v7, vcc
	v_fma_f32 v6, v7, v6, v7
	v_cmp_class_f32_e64 vcc, v7, s5
	v_cndmask_b32_e32 v6, v6, v7, vcc
	v_trunc_f32_e32 v7, v4
	v_cmp_eq_f32_e32 vcc, v7, v4
	v_mul_f32_e32 v7, 0.5, v4
	v_trunc_f32_e32 v10, v7
	v_cmp_neq_f32_e64 s[0:1], v10, v7
	s_and_b64 s[0:1], vcc, s[0:1]
	v_cndmask_b32_e64 v7, 1.0, v3, s[0:1]
	v_mov_b32_e32 v9, 0x7fc00000
	v_bfi_b32 v6, s6, v6, v7
	v_cmp_neq_f32_e64 s[2:3], v4, |v4|
	v_cmp_lt_f32_e64 s[18:19], |v3|, 1.0
	v_cndmask_b32_e32 v7, v9, v6, vcc
	v_cmp_gt_f32_e32 vcc, 0, v3
	s_xor_b64 s[2:3], s[2:3], s[18:19]
	v_cndmask_b32_e32 v6, v6, v7, vcc
	v_cndmask_b32_e64 v7, v8, 0, s[2:3]
	v_cmp_neq_f32_e64 vcc, |v3|, 1.0
	v_cndmask_b32_e32 v7, 1.0, v7, vcc
	v_cmp_class_f32_e64 vcc, v4, s5
	v_cndmask_b32_e32 v6, v6, v7, vcc
	v_cmp_eq_f32_e32 vcc, 0, v3
	v_cmp_gt_f32_e64 s[2:3], 0, v4
	s_xor_b64 s[2:3], s[2:3], vcc
	v_cmp_class_f32_e64 s[18:19], v3, s5
	v_cndmask_b32_e64 v4, v8, 0, s[2:3]
	v_cndmask_b32_e64 v7, 0, v3, s[0:1]
	v_bfi_b32 v4, s6, v4, v7
	s_or_b64 vcc, vcc, s[18:19]
	v_cndmask_b32_e32 v4, v6, v4, vcc
	v_cmp_o_f32_e32 vcc, v3, v3
	v_cndmask_b32_e32 v3, v9, v4, vcc
	v_mul_f32_e32 v5, v3, v5
	v_cmp_eq_f32_e64 s[0:1], s13, 0
	v_mul_f32_e32 v3, s12, v5
	s_and_b64 vcc, exec, s[0:1]
	s_cbranch_vccnz .LBB0_9
; %bb.8:
	v_cvt_f32_i32_e32 v2, v2
	v_div_scale_f32 v6, s[0:1], s12, s12, 1.0
	v_mov_b32_e32 v4, s15
	v_sub_f32_e32 v4, s16, v4
	v_subrev_f32_e32 v2, s15, v2
	v_max_f32_e32 v4, 0x3a83126f, v4
	v_div_scale_f32 v7, s[0:1], v4, v4, v2
	v_div_scale_f32 v8, s[0:1], 1.0, s12, 1.0
	v_div_scale_f32 v9, vcc, v2, v4, v2
	s_mov_b32 s2, 0x3f317217
	v_rcp_f32_e32 v10, v6
	v_fma_f32 v11, -v6, v10, 1.0
	v_fmac_f32_e32 v10, v11, v10
	v_rcp_f32_e32 v12, v7
	v_mul_f32_e32 v11, v8, v10
	v_fma_f32 v13, -v6, v11, v8
	v_fmac_f32_e32 v11, v13, v10
	v_fma_f32 v13, -v7, v12, 1.0
	v_fmac_f32_e32 v12, v13, v12
	v_fma_f32 v6, -v6, v11, v8
	v_mul_f32_e32 v8, v9, v12
	v_fma_f32 v13, -v7, v8, v9
	v_fmac_f32_e32 v8, v13, v12
	v_fma_f32 v7, -v7, v8, v9
	v_div_fmas_f32 v7, v7, v12, v8
	s_mov_b64 vcc, s[0:1]
	v_div_fmas_f32 v6, v6, v10, v11
	s_mov_b32 s0, 0x800000
	v_mov_b32_e32 v8, 0x41b17218
	v_div_fixup_f32 v2, v7, v4, v2 clamp
	v_sub_f32_e32 v2, 1.0, v2
	v_div_fixup_f32 v4, v6, s12, 1.0
	v_cmp_gt_f32_e32 vcc, s0, v4
	s_and_b64 s[0:1], vcc, exec
	s_cselect_b32 s0, 32, 0
	v_ldexp_f32 v4, v4, s0
	v_log_f32_e32 v4, v4
	v_mul_f32_e32 v6, s13, v2
	v_fma_f32 v2, -s13, v2, 1.0
	v_mul_f32_e32 v3, v2, v3
	v_mul_f32_e32 v2, 0x3f317217, v4
	v_fma_f32 v2, v4, s2, -v2
	v_fmac_f32_e32 v2, 0x3377d1cf, v4
	v_cndmask_b32_e32 v7, 0, v8, vcc
	v_fmac_f32_e32 v2, 0x3f317217, v4
	v_cmp_lt_f32_e64 vcc, |v4|, s4
	v_cndmask_b32_e32 v2, v4, v2, vcc
	v_sub_f32_e32 v2, v2, v7
	s_mov_b32 s0, 0x3dcccccd
	v_fma_f32 v2, v2, s0, 1.0
	v_fmac_f32_e32 v3, v6, v5
	v_mul_f32_e32 v4, s14, v2
	s_branch .LBB0_10
.LBB0_9:
	v_mov_b32_e32 v4, s14
.LBB0_10:
	v_and_b32_e32 v5, 0x7fffffff, v3
	s_brev_b32 s0, 18
	v_cmp_nlt_f32_e64 s[12:13], |v3|, s0
	v_lshrrev_b32_e32 v2, 23, v5
                                        ; implicit-def: $vgpr7
                                        ; implicit-def: $vgpr6
	s_and_saveexec_b64 s[0:1], s[12:13]
	s_xor_b64 s[14:15], exec, s[0:1]
	s_cbranch_execz .LBB0_12
; %bb.11:
	v_and_b32_e32 v6, 0x7fffff, v5
	v_or_b32_e32 v15, 0x800000, v6
	s_mov_b32 s0, 0xfe5163ab
	v_mad_u64_u32 v[6:7], s[0:1], v15, s0, 0
	v_mov_b32_e32 v8, 0
	s_mov_b32 s0, 0x3c439041
	v_mad_u64_u32 v[9:10], s[0:1], v15, s0, v[7:8]
	s_mov_b32 s0, 0xdb629599
	v_add_u32_e32 v14, 0xffffff88, v2
	v_mov_b32_e32 v7, v10
	v_mad_u64_u32 v[10:11], s[0:1], v15, s0, v[7:8]
	s_mov_b32 s0, 0xf534ddc0
	v_not_b32_e32 v16, 63
	v_mov_b32_e32 v7, v11
	v_mad_u64_u32 v[11:12], s[0:1], v15, s0, v[7:8]
	s_mov_b32 s0, 0xfc2757d1
	v_cmp_lt_u32_e32 vcc, 63, v14
	v_mov_b32_e32 v7, v12
	v_mad_u64_u32 v[12:13], s[0:1], v15, s0, v[7:8]
	v_cndmask_b32_e32 v7, 0, v16, vcc
	v_add_u32_e32 v16, v7, v14
	v_mov_b32_e32 v7, v13
	s_mov_b32 s0, 0x4e441529
	v_mad_u64_u32 v[13:14], s[0:1], v15, s0, v[7:8]
	v_not_b32_e32 v17, 31
	v_cmp_lt_u32_e64 s[0:1], 31, v16
	v_cndmask_b32_e64 v7, 0, v17, s[0:1]
	v_add_u32_e32 v16, v7, v16
	v_mov_b32_e32 v7, v14
	s_mov_b32 s2, 0xa2f9836e
	v_mad_u64_u32 v[7:8], s[2:3], v15, s2, v[7:8]
	v_cmp_lt_u32_e64 s[2:3], 31, v16
	v_cndmask_b32_e64 v14, 0, v17, s[2:3]
	v_cndmask_b32_e32 v15, v13, v11, vcc
	v_cndmask_b32_e32 v7, v7, v12, vcc
	;; [unrolled: 1-line block ×3, first 2 shown]
	v_add_u32_e32 v14, v14, v16
	v_cndmask_b32_e64 v16, v7, v15, s[0:1]
	v_cndmask_b32_e64 v7, v8, v7, s[0:1]
	v_cndmask_b32_e32 v8, v12, v10, vcc
	v_cndmask_b32_e64 v12, v15, v8, s[0:1]
	v_cndmask_b32_e32 v9, v11, v9, vcc
	v_cndmask_b32_e64 v7, v7, v16, s[2:3]
	v_cndmask_b32_e64 v13, v16, v12, s[2:3]
	v_sub_u32_e32 v15, 32, v14
	v_cndmask_b32_e64 v8, v8, v9, s[0:1]
	v_alignbit_b32 v16, v7, v13, v15
	v_cmp_eq_u32_e64 s[4:5], 0, v14
	v_cndmask_b32_e64 v11, v12, v8, s[2:3]
	v_cndmask_b32_e64 v7, v16, v7, s[4:5]
	v_alignbit_b32 v12, v13, v11, v15
	v_cndmask_b32_e32 v6, v10, v6, vcc
	v_cndmask_b32_e64 v12, v12, v13, s[4:5]
	v_bfe_u32 v16, v7, 29, 1
	v_cndmask_b32_e64 v6, v9, v6, s[0:1]
	v_alignbit_b32 v13, v7, v12, 30
	v_sub_u32_e32 v17, 0, v16
	v_cndmask_b32_e64 v6, v8, v6, s[2:3]
	v_xor_b32_e32 v13, v13, v17
	v_alignbit_b32 v8, v11, v6, v15
	v_cndmask_b32_e64 v8, v8, v11, s[4:5]
	v_ffbh_u32_e32 v10, v13
	v_alignbit_b32 v9, v12, v8, 30
	v_min_u32_e32 v10, 32, v10
	v_alignbit_b32 v6, v8, v6, 30
	v_xor_b32_e32 v9, v9, v17
	v_sub_u32_e32 v11, 31, v10
	v_xor_b32_e32 v6, v6, v17
	v_alignbit_b32 v12, v13, v9, v11
	v_alignbit_b32 v6, v9, v6, v11
	;; [unrolled: 1-line block ×3, first 2 shown]
	v_ffbh_u32_e32 v9, v8
	v_min_u32_e32 v9, 32, v9
	v_lshrrev_b32_e32 v14, 29, v7
	v_not_b32_e32 v11, v9
	v_alignbit_b32 v6, v8, v6, v11
	v_lshlrev_b32_e32 v8, 31, v14
	v_or_b32_e32 v11, 0x33000000, v8
	v_add_lshl_u32 v9, v9, v10, 23
	v_lshrrev_b32_e32 v6, 9, v6
	v_sub_u32_e32 v9, v11, v9
	v_or_b32_e32 v8, 0.5, v8
	v_lshlrev_b32_e32 v10, 23, v10
	v_or_b32_e32 v6, v9, v6
	v_lshrrev_b32_e32 v9, 9, v12
	v_sub_u32_e32 v8, v8, v10
	v_or_b32_e32 v8, v9, v8
	s_mov_b32 s0, 0x3fc90fda
	v_mul_f32_e32 v9, 0x3fc90fda, v8
	v_fma_f32 v10, v8, s0, -v9
	v_fmac_f32_e32 v10, 0x33a22168, v8
	v_fmac_f32_e32 v10, 0x3fc90fda, v6
	v_lshrrev_b32_e32 v7, 30, v7
	v_add_f32_e32 v6, v9, v10
	v_add_u32_e32 v7, v16, v7
	s_andn2_saveexec_b64 s[0:1], s[14:15]
	s_cbranch_execz .LBB0_14
	s_branch .LBB0_13
.LBB0_12:
	s_andn2_saveexec_b64 s[0:1], s[14:15]
	s_cbranch_execz .LBB0_14
.LBB0_13:
	s_mov_b32 s2, 0x3f22f983
	v_mul_f32_e64 v6, |v3|, s2
	v_rndne_f32_e32 v8, v6
	s_mov_b32 s2, 0xbfc90fda
	v_cvt_i32_f32_e32 v7, v8
	v_fma_f32 v6, v8, s2, |v3|
	v_fmac_f32_e32 v6, 0xb3a22168, v8
	v_fmac_f32_e32 v6, 0xa7c234c4, v8
.LBB0_14:
	s_or_b64 exec, exec, s[0:1]
                                        ; implicit-def: $vgpr9
                                        ; implicit-def: $vgpr8
	s_and_saveexec_b64 s[0:1], s[12:13]
	s_xor_b64 s[12:13], exec, s[0:1]
	s_cbranch_execz .LBB0_16
; %bb.15:
	v_and_b32_e32 v8, 0x7fffff, v5
	v_or_b32_e32 v17, 0x800000, v8
	s_mov_b32 s0, 0xfe5163ab
	v_mad_u64_u32 v[8:9], s[0:1], v17, s0, 0
	v_mov_b32_e32 v10, 0
	s_mov_b32 s0, 0x3c439041
	v_mad_u64_u32 v[11:12], s[0:1], v17, s0, v[9:10]
	s_mov_b32 s0, 0xdb629599
	v_add_u32_e32 v2, 0xffffff88, v2
	v_mov_b32_e32 v9, v12
	v_mad_u64_u32 v[12:13], s[0:1], v17, s0, v[9:10]
	s_mov_b32 s0, 0xf534ddc0
	v_not_b32_e32 v16, 63
	v_mov_b32_e32 v9, v13
	v_mad_u64_u32 v[13:14], s[0:1], v17, s0, v[9:10]
	s_mov_b32 s0, 0xfc2757d1
	v_cmp_lt_u32_e32 vcc, 63, v2
	v_mov_b32_e32 v9, v14
	v_mad_u64_u32 v[14:15], s[0:1], v17, s0, v[9:10]
	v_cndmask_b32_e32 v9, 0, v16, vcc
	v_add_u32_e32 v2, v9, v2
	v_mov_b32_e32 v9, v15
	s_mov_b32 s0, 0x4e441529
	v_mad_u64_u32 v[15:16], s[0:1], v17, s0, v[9:10]
	v_not_b32_e32 v18, 31
	v_cmp_lt_u32_e64 s[0:1], 31, v2
	v_cndmask_b32_e64 v9, 0, v18, s[0:1]
	v_add_u32_e32 v2, v9, v2
	v_mov_b32_e32 v9, v16
	s_mov_b32 s2, 0xa2f9836e
	v_mad_u64_u32 v[9:10], s[2:3], v17, s2, v[9:10]
	v_cmp_lt_u32_e64 s[2:3], 31, v2
	v_cndmask_b32_e64 v16, 0, v18, s[2:3]
	v_add_u32_e32 v2, v16, v2
	v_cndmask_b32_e32 v16, v15, v13, vcc
	v_cndmask_b32_e32 v9, v9, v14, vcc
	;; [unrolled: 1-line block ×3, first 2 shown]
	v_cndmask_b32_e64 v17, v9, v16, s[0:1]
	v_cndmask_b32_e64 v9, v10, v9, s[0:1]
	v_cndmask_b32_e32 v10, v14, v12, vcc
	v_cndmask_b32_e64 v14, v16, v10, s[0:1]
	v_cndmask_b32_e64 v9, v9, v17, s[2:3]
	;; [unrolled: 1-line block ×3, first 2 shown]
	v_sub_u32_e32 v16, 32, v2
	v_alignbit_b32 v17, v9, v15, v16
	v_cmp_eq_u32_e64 s[4:5], 0, v2
	v_cndmask_b32_e64 v2, v17, v9, s[4:5]
	v_cndmask_b32_e32 v9, v13, v11, vcc
	v_cndmask_b32_e64 v10, v10, v9, s[0:1]
	v_cndmask_b32_e64 v11, v14, v10, s[2:3]
	v_alignbit_b32 v13, v15, v11, v16
	v_cndmask_b32_e32 v8, v12, v8, vcc
	v_cndmask_b32_e64 v13, v13, v15, s[4:5]
	v_bfe_u32 v17, v2, 29, 1
	v_cndmask_b32_e64 v8, v9, v8, s[0:1]
	v_alignbit_b32 v14, v2, v13, 30
	v_sub_u32_e32 v18, 0, v17
	v_cndmask_b32_e64 v8, v10, v8, s[2:3]
	v_xor_b32_e32 v14, v14, v18
	v_alignbit_b32 v9, v11, v8, v16
	v_cndmask_b32_e64 v9, v9, v11, s[4:5]
	v_ffbh_u32_e32 v11, v14
	v_alignbit_b32 v10, v13, v9, 30
	v_min_u32_e32 v11, 32, v11
	v_alignbit_b32 v8, v9, v8, 30
	v_xor_b32_e32 v10, v10, v18
	v_sub_u32_e32 v12, 31, v11
	v_xor_b32_e32 v8, v8, v18
	v_alignbit_b32 v13, v14, v10, v12
	v_alignbit_b32 v8, v10, v8, v12
	v_alignbit_b32 v9, v13, v8, 9
	v_ffbh_u32_e32 v10, v9
	v_min_u32_e32 v10, 32, v10
	v_lshrrev_b32_e32 v15, 29, v2
	v_not_b32_e32 v12, v10
	v_alignbit_b32 v8, v9, v8, v12
	v_lshlrev_b32_e32 v9, 31, v15
	v_or_b32_e32 v12, 0x33000000, v9
	v_add_lshl_u32 v10, v10, v11, 23
	v_lshrrev_b32_e32 v8, 9, v8
	v_sub_u32_e32 v10, v12, v10
	v_or_b32_e32 v9, 0.5, v9
	v_lshlrev_b32_e32 v11, 23, v11
	v_or_b32_e32 v8, v10, v8
	v_lshrrev_b32_e32 v10, 9, v13
	v_sub_u32_e32 v9, v9, v11
	v_or_b32_e32 v9, v10, v9
	s_mov_b32 s0, 0x3fc90fda
	v_mul_f32_e32 v10, 0x3fc90fda, v9
	v_fma_f32 v11, v9, s0, -v10
	v_fmac_f32_e32 v11, 0x33a22168, v9
	v_fmac_f32_e32 v11, 0x3fc90fda, v8
	v_lshrrev_b32_e32 v2, 30, v2
	v_add_f32_e32 v8, v10, v11
	v_add_u32_e32 v9, v17, v2
	s_andn2_saveexec_b64 s[0:1], s[12:13]
	s_cbranch_execnz .LBB0_17
	s_branch .LBB0_18
.LBB0_16:
	s_andn2_saveexec_b64 s[0:1], s[12:13]
	s_cbranch_execz .LBB0_18
.LBB0_17:
	s_mov_b32 s2, 0x3f22f983
	v_mul_f32_e64 v2, |v3|, s2
	v_rndne_f32_e32 v2, v2
	s_mov_b32 s2, 0xbfc90fda
	v_cvt_i32_f32_e32 v9, v2
	v_fma_f32 v8, v2, s2, |v3|
	v_fmac_f32_e32 v8, 0xb3a22168, v2
	v_fmac_f32_e32 v8, 0xa7c234c4, v2
.LBB0_18:
	s_or_b64 exec, exec, s[0:1]
	v_ashrrev_i32_e32 v2, 31, v1
	s_lshr_b32 s0, s7, 31
	v_lshlrev_b64 v[1:2], 2, v[1:2]
	s_add_i32 s0, s7, s0
	s_ashr_i32 s0, s0, 1
	v_mov_b32_e32 v10, s9
	v_add_co_u32_e32 v1, vcc, s8, v1
	s_ashr_i32 s1, s0, 31
	v_addc_co_u32_e32 v2, vcc, v10, v2, vcc
	s_lshl_b64 s[0:1], s[0:1], 2
	v_mov_b32_e32 v12, s1
	v_add_co_u32_e32 v10, vcc, s0, v1
	v_addc_co_u32_e32 v11, vcc, v2, v12, vcc
	global_load_dword v13, v[1:2], off
	global_load_dword v14, v[10:11], off
	v_ashrrev_i32_e32 v1, 31, v0
	v_lshlrev_b64 v[0:1], 2, v[0:1]
	v_mov_b32_e32 v17, s11
	v_add_co_u32_e32 v0, vcc, s10, v0
	v_mul_f32_e32 v2, v6, v6
	v_mov_b32_e32 v16, 0xbab64f3b
	v_addc_co_u32_e32 v1, vcc, v17, v1, vcc
	v_mov_b32_e32 v17, 0xbab64f3b
	v_mul_f32_e32 v19, v8, v8
	v_mov_b32_e32 v10, 0x3c0881c4
	v_mov_b32_e32 v11, 0x3c0881c4
	;; [unrolled: 1-line block ×3, first 2 shown]
	v_fmac_f32_e32 v17, 0x37d75334, v2
	v_fmac_f32_e32 v16, 0x37d75334, v19
	v_mov_b32_e32 v15, 0xbe2aaa9d
	v_fmac_f32_e32 v11, 0xb94c1982, v2
	v_fmac_f32_e32 v10, 0xb94c1982, v19
	v_fma_f32 v17, v2, v17, v18
	v_fmac_f32_e32 v18, v19, v16
	v_lshlrev_b32_e32 v16, 30, v9
	v_fma_f32 v11, v2, v11, v15
	v_fmac_f32_e32 v15, v19, v10
	v_mov_b32_e32 v10, 0xbf000004
	v_xor_b32_e32 v5, v5, v3
	v_and_b32_e32 v16, 0x80000000, v16
	v_xor_b32_e32 v5, v5, v16
	v_and_b32_e32 v16, 1, v7
	v_fma_f32 v17, v2, v17, v10
	v_mul_f32_e32 v11, v2, v11
	v_fmac_f32_e32 v10, v19, v18
	v_and_b32_e32 v9, 1, v9
	v_mul_f32_e32 v15, v19, v15
	v_fmac_f32_e32 v6, v6, v11
	v_fma_f32 v2, v2, v17, 1.0
	v_cmp_eq_u32_e32 vcc, 0, v16
	v_lshlrev_b32_e32 v7, 30, v7
	v_fmac_f32_e32 v8, v8, v15
	v_fma_f32 v10, v19, v10, 1.0
	v_cndmask_b32_e64 v2, -v6, v2, vcc
	v_cmp_eq_u32_e32 vcc, 0, v9
	v_and_b32_e32 v7, 0x80000000, v7
	v_cndmask_b32_e32 v6, v10, v8, vcc
	v_xor_b32_e32 v2, v7, v2
	v_xor_b32_e32 v7, v5, v6
	v_add_co_u32_e32 v5, vcc, s0, v0
	s_movk_i32 s1, 0x1f8
	v_addc_co_u32_e32 v6, vcc, v1, v12, vcc
	v_mov_b32_e32 v18, 0x7fc00000
	v_cmp_class_f32_e64 vcc, v3, s1
	v_cndmask_b32_e32 v3, v18, v7, vcc
	v_cndmask_b32_e32 v2, v18, v2, vcc
	v_mul_f32_e32 v3, v4, v3
	v_mul_f32_e32 v2, v4, v2
	s_waitcnt vmcnt(1)
	v_mul_f32_e32 v4, v13, v3
	s_waitcnt vmcnt(0)
	v_mul_f32_e32 v3, v14, v3
	v_fmac_f32_e32 v4, v2, v14
	v_fma_f32 v2, v2, v13, -v3
	global_store_dword v[0:1], v2, off
	global_store_dword v[5:6], v4, off
.LBB0_19:
	s_endpgm
	.section	.rodata,"a",@progbits
	.p2align	6, 0x0
	.amdhsa_kernel _ZL9rope_neoxILb1ELb0EffEvPKT1_PT2_iiiiiiiiiiPKifff14rope_corr_dimsfPKfPKli
		.amdhsa_group_segment_fixed_size 0
		.amdhsa_private_segment_fixed_size 0
		.amdhsa_kernarg_size 368
		.amdhsa_user_sgpr_count 6
		.amdhsa_user_sgpr_private_segment_buffer 1
		.amdhsa_user_sgpr_dispatch_ptr 0
		.amdhsa_user_sgpr_queue_ptr 0
		.amdhsa_user_sgpr_kernarg_segment_ptr 1
		.amdhsa_user_sgpr_dispatch_id 0
		.amdhsa_user_sgpr_flat_scratch_init 0
		.amdhsa_user_sgpr_private_segment_size 0
		.amdhsa_uses_dynamic_stack 0
		.amdhsa_system_sgpr_private_segment_wavefront_offset 0
		.amdhsa_system_sgpr_workgroup_id_x 1
		.amdhsa_system_sgpr_workgroup_id_y 1
		.amdhsa_system_sgpr_workgroup_id_z 0
		.amdhsa_system_sgpr_workgroup_info 0
		.amdhsa_system_vgpr_workitem_id 1
		.amdhsa_next_free_vgpr 20
		.amdhsa_next_free_sgpr 20
		.amdhsa_reserve_vcc 1
		.amdhsa_reserve_flat_scratch 0
		.amdhsa_float_round_mode_32 0
		.amdhsa_float_round_mode_16_64 0
		.amdhsa_float_denorm_mode_32 3
		.amdhsa_float_denorm_mode_16_64 3
		.amdhsa_dx10_clamp 1
		.amdhsa_ieee_mode 1
		.amdhsa_fp16_overflow 0
		.amdhsa_exception_fp_ieee_invalid_op 0
		.amdhsa_exception_fp_denorm_src 0
		.amdhsa_exception_fp_ieee_div_zero 0
		.amdhsa_exception_fp_ieee_overflow 0
		.amdhsa_exception_fp_ieee_underflow 0
		.amdhsa_exception_fp_ieee_inexact 0
		.amdhsa_exception_int_div_zero 0
	.end_amdhsa_kernel
	.section	.text._ZL9rope_neoxILb1ELb0EffEvPKT1_PT2_iiiiiiiiiiPKifff14rope_corr_dimsfPKfPKli,"axG",@progbits,_ZL9rope_neoxILb1ELb0EffEvPKT1_PT2_iiiiiiiiiiPKifff14rope_corr_dimsfPKfPKli,comdat
.Lfunc_end0:
	.size	_ZL9rope_neoxILb1ELb0EffEvPKT1_PT2_iiiiiiiiiiPKifff14rope_corr_dimsfPKfPKli, .Lfunc_end0-_ZL9rope_neoxILb1ELb0EffEvPKT1_PT2_iiiiiiiiiiPKifff14rope_corr_dimsfPKfPKli
                                        ; -- End function
	.set _ZL9rope_neoxILb1ELb0EffEvPKT1_PT2_iiiiiiiiiiPKifff14rope_corr_dimsfPKfPKli.num_vgpr, 20
	.set _ZL9rope_neoxILb1ELb0EffEvPKT1_PT2_iiiiiiiiiiPKifff14rope_corr_dimsfPKfPKli.num_agpr, 0
	.set _ZL9rope_neoxILb1ELb0EffEvPKT1_PT2_iiiiiiiiiiPKifff14rope_corr_dimsfPKfPKli.numbered_sgpr, 20
	.set _ZL9rope_neoxILb1ELb0EffEvPKT1_PT2_iiiiiiiiiiPKifff14rope_corr_dimsfPKfPKli.num_named_barrier, 0
	.set _ZL9rope_neoxILb1ELb0EffEvPKT1_PT2_iiiiiiiiiiPKifff14rope_corr_dimsfPKfPKli.private_seg_size, 0
	.set _ZL9rope_neoxILb1ELb0EffEvPKT1_PT2_iiiiiiiiiiPKifff14rope_corr_dimsfPKfPKli.uses_vcc, 1
	.set _ZL9rope_neoxILb1ELb0EffEvPKT1_PT2_iiiiiiiiiiPKifff14rope_corr_dimsfPKfPKli.uses_flat_scratch, 0
	.set _ZL9rope_neoxILb1ELb0EffEvPKT1_PT2_iiiiiiiiiiPKifff14rope_corr_dimsfPKfPKli.has_dyn_sized_stack, 0
	.set _ZL9rope_neoxILb1ELb0EffEvPKT1_PT2_iiiiiiiiiiPKifff14rope_corr_dimsfPKfPKli.has_recursion, 0
	.set _ZL9rope_neoxILb1ELb0EffEvPKT1_PT2_iiiiiiiiiiPKifff14rope_corr_dimsfPKfPKli.has_indirect_call, 0
	.section	.AMDGPU.csdata,"",@progbits
; Kernel info:
; codeLenInByte = 3780
; TotalNumSgprs: 24
; NumVgprs: 20
; ScratchSize: 0
; MemoryBound: 0
; FloatMode: 240
; IeeeMode: 1
; LDSByteSize: 0 bytes/workgroup (compile time only)
; SGPRBlocks: 2
; VGPRBlocks: 4
; NumSGPRsForWavesPerEU: 24
; NumVGPRsForWavesPerEU: 20
; Occupancy: 10
; WaveLimiterHint : 0
; COMPUTE_PGM_RSRC2:SCRATCH_EN: 0
; COMPUTE_PGM_RSRC2:USER_SGPR: 6
; COMPUTE_PGM_RSRC2:TRAP_HANDLER: 0
; COMPUTE_PGM_RSRC2:TGID_X_EN: 1
; COMPUTE_PGM_RSRC2:TGID_Y_EN: 1
; COMPUTE_PGM_RSRC2:TGID_Z_EN: 0
; COMPUTE_PGM_RSRC2:TIDIG_COMP_CNT: 1
	.section	.text._ZL9rope_neoxILb1ELb1EffEvPKT1_PT2_iiiiiiiiiiPKifff14rope_corr_dimsfPKfPKli,"axG",@progbits,_ZL9rope_neoxILb1ELb1EffEvPKT1_PT2_iiiiiiiiiiPKifff14rope_corr_dimsfPKfPKli,comdat
	.globl	_ZL9rope_neoxILb1ELb1EffEvPKT1_PT2_iiiiiiiiiiPKifff14rope_corr_dimsfPKfPKli ; -- Begin function _ZL9rope_neoxILb1ELb1EffEvPKT1_PT2_iiiiiiiiiiPKifff14rope_corr_dimsfPKfPKli
	.p2align	8
	.type	_ZL9rope_neoxILb1ELb1EffEvPKT1_PT2_iiiiiiiiiiPKifff14rope_corr_dimsfPKfPKli,@function
_ZL9rope_neoxILb1ELb1EffEvPKT1_PT2_iiiiiiiiiiPKifff14rope_corr_dimsfPKfPKli: ; @_ZL9rope_neoxILb1ELb1EffEvPKT1_PT2_iiiiiiiiiiPKifff14rope_corr_dimsfPKfPKli
; %bb.0:
	s_load_dword s2, s[4:5], 0x7c
	s_load_dwordx8 s[8:15], s[4:5], 0x10
	s_add_u32 s0, s4, 0x70
	s_addc_u32 s1, s5, 0
	s_waitcnt lgkmcnt(0)
	s_lshr_b32 s2, s2, 16
	s_mul_i32 s7, s7, s2
	v_add_lshl_u32 v5, s7, v1, 1
	v_cmp_gt_i32_e32 vcc, s8, v5
	s_and_saveexec_b64 s[2:3], vcc
	s_cbranch_execz .LBB1_19
; %bb.1:
	s_mul_i32 s2, s10, s9
	s_abs_i32 s3, s2
	v_cvt_f32_u32_e32 v1, s3
	s_load_dword s0, s[0:1], 0xc
	s_sub_i32 s1, 0, s3
	v_cvt_f32_u32_e32 v2, s9
	v_rcp_iflag_f32_e32 v1, v1
	s_waitcnt lgkmcnt(0)
	s_and_b32 s0, s0, 0xffff
	s_mul_i32 s6, s6, s0
	v_mul_f32_e32 v1, 0x4f7ffffe, v1
	v_cvt_u32_f32_e32 v1, v1
	v_add_u32_e32 v0, s6, v0
	v_sub_u32_e32 v4, 0, v0
	v_max_i32_e32 v4, v0, v4
	v_mul_lo_u32 v3, s1, v1
	v_rcp_iflag_f32_e32 v2, v2
	s_sub_i32 s0, 0, s9
	v_xor_b32_e32 v6, s2, v0
	v_mul_hi_u32 v3, v1, v3
	v_mul_f32_e32 v2, 0x4f7ffffe, v2
	v_cvt_u32_f32_e32 v2, v2
	v_ashrrev_i32_e32 v6, 31, v6
	v_add_u32_e32 v1, v1, v3
	v_mul_hi_u32 v1, v4, v1
	v_mul_lo_u32 v3, s0, v2
	s_load_dword s6, s[4:5], 0x68
	v_mul_lo_u32 v7, v1, s3
	v_add_u32_e32 v8, 1, v1
	v_mul_hi_u32 v3, v2, v3
	s_waitcnt lgkmcnt(0)
	s_cmp_eq_u32 s6, 0
	v_sub_u32_e32 v4, v4, v7
	v_cmp_le_u32_e32 vcc, s3, v4
	v_subrev_u32_e32 v7, s3, v4
	v_cndmask_b32_e32 v1, v1, v8, vcc
	v_cndmask_b32_e32 v4, v4, v7, vcc
	v_add_u32_e32 v7, 1, v1
	v_cmp_le_u32_e32 vcc, s3, v4
	v_cndmask_b32_e32 v1, v1, v7, vcc
	v_xor_b32_e32 v1, v1, v6
	v_sub_u32_e32 v6, v1, v6
	v_mul_lo_u32 v1, s2, v6
	v_add_u32_e32 v2, v2, v3
	s_load_dwordx2 s[16:17], s[4:5], 0x30
	s_load_dwordx4 s[0:3], s[4:5], 0x58
	v_sub_u32_e32 v7, v0, v1
	v_mul_hi_u32 v0, v7, v2
	v_mul_lo_u32 v1, v0, s9
	v_add_u32_e32 v2, 1, v0
	v_sub_u32_e32 v1, v7, v1
	v_cmp_le_u32_e32 vcc, s9, v1
	v_cndmask_b32_e32 v0, v0, v2, vcc
	v_subrev_u32_e32 v2, s9, v1
	v_cndmask_b32_e32 v1, v1, v2, vcc
	v_add_u32_e32 v2, 1, v0
	v_cmp_le_u32_e32 vcc, s9, v1
	v_cndmask_b32_e32 v3, v0, v2, vcc
	s_cbranch_scc1 .LBB1_3
; %bb.2:
	v_mov_b32_e32 v4, 0
	v_lshlrev_b64 v[0:1], 3, v[3:4]
	s_waitcnt lgkmcnt(0)
	v_mov_b32_e32 v2, s3
	v_add_co_u32_e32 v0, vcc, s2, v0
	v_addc_co_u32_e32 v1, vcc, v2, v1, vcc
	global_load_dword v0, v[0:1], off
	s_waitcnt vmcnt(0)
	v_mul_lo_u32 v0, s6, v0
	s_branch .LBB1_4
.LBB1_3:
	s_waitcnt lgkmcnt(0)
	v_mul_lo_u32 v0, v6, s16
	v_mad_u64_u32 v[0:1], s[2:3], v3, s15, v[0:1]
.LBB1_4:
	v_mul_lo_u32 v1, v3, s9
	v_ashrrev_i32_e32 v2, 1, v5
	v_mul_lo_u32 v4, v3, s12
	v_cmp_le_i32_e32 vcc, s17, v5
	v_sub_u32_e32 v1, v7, v1
	v_mad_u64_u32 v[6:7], s[2:3], v6, s13, v[2:3]
	v_mul_lo_u32 v8, v1, s11
	v_mul_lo_u32 v7, v1, s14
	s_load_dwordx4 s[8:11], s[4:5], 0x0
	v_add3_u32 v1, v6, v4, v8
	v_add3_u32 v0, v7, v2, v0
	s_and_saveexec_b64 s[2:3], vcc
	s_xor_b64 s[2:3], exec, s[2:3]
	s_cbranch_execz .LBB1_6
; %bb.5:
	v_add_u32_e32 v3, v1, v2
	v_ashrrev_i32_e32 v4, 31, v3
	v_lshlrev_b64 v[3:4], 2, v[3:4]
	s_waitcnt lgkmcnt(0)
	v_mov_b32_e32 v1, s9
	v_add_co_u32_e32 v3, vcc, s8, v3
	v_addc_co_u32_e32 v4, vcc, v1, v4, vcc
	global_load_dword v5, v[3:4], off
	v_add_u32_e32 v0, v0, v2
	v_ashrrev_i32_e32 v1, 31, v0
	v_lshlrev_b64 v[0:1], 2, v[0:1]
	v_mov_b32_e32 v2, s11
	v_add_co_u32_e32 v0, vcc, s10, v0
	v_addc_co_u32_e32 v1, vcc, v2, v1, vcc
	s_waitcnt vmcnt(0)
	global_store_dword v[0:1], v5, off
	global_load_dword v2, v[3:4], off offset:4
                                        ; implicit-def: $vgpr3
                                        ; implicit-def: $vgpr5
	s_waitcnt vmcnt(0)
	global_store_dword v[0:1], v2, off offset:4
                                        ; implicit-def: $vgpr1
                                        ; implicit-def: $vgpr0
                                        ; implicit-def: $vgpr2
.LBB1_6:
	s_andn2_saveexec_b64 s[2:3], s[2:3]
	s_cbranch_execz .LBB1_19
; %bb.7:
	s_load_dwordx2 s[2:3], s[4:5], 0x38
	s_load_dwordx2 s[12:13], s[4:5], 0x50
	v_mov_b32_e32 v4, 0
	v_lshlrev_b64 v[3:4], 2, v[3:4]
	v_mov_b32_e32 v8, 0x3e91f4c4
	s_waitcnt lgkmcnt(0)
	v_mov_b32_e32 v6, s3
	v_add_co_u32_e32 v3, vcc, s2, v3
	v_addc_co_u32_e32 v4, vcc, v6, v4, vcc
	global_load_dword v3, v[3:4], off
	v_cvt_f32_i32_e32 v4, v5
	v_cmp_neq_f32_e64 vcc, s13, 1.0
	s_mov_b32 s2, 0x3f2aaaab
	v_mov_b32_e32 v9, 0x3ecccdef
	v_mul_f32_e32 v4, 0.5, v4
	v_cndmask_b32_e32 v5, 1.0, v4, vcc
	v_mov_b32_e32 v4, s13
	v_cmp_neq_f32_e32 vcc, 0, v5
	v_cndmask_b32_e32 v4, 1.0, v4, vcc
	v_frexp_mant_f32_e64 v10, |v4|
	v_cmp_gt_f32_e32 vcc, s2, v10
	v_cvt_f64_f32_e64 v[6:7], |v4|
	v_cndmask_b32_e64 v11, 1.0, 2.0, vcc
	v_mul_f32_e32 v10, v10, v11
	v_add_f32_e32 v12, 1.0, v10
	v_rcp_f32_e32 v13, v12
	v_frexp_exp_i32_f64_e32 v6, v[6:7]
	v_add_f32_e32 v11, -1.0, v10
	v_add_f32_e32 v14, -1.0, v12
	v_sub_f32_e32 v7, v10, v14
	v_mul_f32_e32 v10, v11, v13
	v_mul_f32_e32 v14, v12, v10
	v_fma_f32 v12, v10, v12, -v14
	v_fmac_f32_e32 v12, v10, v7
	v_add_f32_e32 v7, v14, v12
	v_subbrev_co_u32_e32 v6, vcc, 0, v6, vcc
	v_sub_f32_e32 v15, v11, v7
	v_sub_f32_e32 v14, v7, v14
	v_cvt_f32_i32_e32 v16, v6
	v_sub_f32_e32 v6, v11, v15
	v_sub_f32_e32 v11, v14, v12
	;; [unrolled: 1-line block ×3, first 2 shown]
	v_add_f32_e32 v6, v11, v6
	v_add_f32_e32 v6, v15, v6
	v_mul_f32_e32 v6, v13, v6
	v_add_f32_e32 v12, v10, v6
	v_sub_f32_e32 v10, v12, v10
	v_mul_f32_e32 v13, v12, v12
	v_sub_f32_e32 v10, v6, v10
	v_fma_f32 v6, v12, v12, -v13
	v_add_f32_e32 v14, v10, v10
	v_fmac_f32_e32 v6, v12, v14
	v_add_f32_e32 v14, v13, v6
	v_fmac_f32_e32 v8, 0x3e76c4e1, v14
	v_mul_f32_e32 v15, v12, v14
	v_sub_f32_e32 v13, v14, v13
	v_fmac_f32_e32 v9, v14, v8
	v_fma_f32 v8, v14, v12, -v15
	v_sub_f32_e32 v6, v6, v13
	v_fmac_f32_e32 v8, v14, v10
	v_mul_f32_e32 v13, v14, v9
	v_fmac_f32_e32 v8, v6, v12
	v_fma_f32 v14, v14, v9, -v13
	v_add_f32_e32 v17, v15, v8
	v_fmac_f32_e32 v14, v6, v9
	v_sub_f32_e32 v6, v17, v15
	v_add_f32_e32 v9, v13, v14
	v_sub_f32_e32 v6, v8, v6
	v_add_f32_e32 v8, 0x3f2aaaaa, v9
	v_sub_f32_e32 v13, v9, v13
	v_sub_f32_e32 v13, v14, v13
	v_add_f32_e32 v14, 0xbf2aaaaa, v8
	v_add_f32_e32 v13, 0x31739010, v13
	v_sub_f32_e32 v9, v9, v14
	v_add_f32_e32 v9, v13, v9
	v_add_f32_e32 v13, v8, v9
	s_mov_b32 s3, 0x3f317218
	v_mul_f32_e32 v7, 0x3f317218, v16
	v_sub_f32_e32 v8, v8, v13
	v_mul_f32_e32 v14, v17, v13
	v_fma_f32 v11, v16, s3, -v7
	v_add_f32_e32 v8, v9, v8
	v_fma_f32 v9, v17, v13, -v14
	v_fmac_f32_e32 v9, v17, v8
	v_fmac_f32_e32 v11, 0xb102e308, v16
	;; [unrolled: 1-line block ×3, first 2 shown]
	v_ldexp_f32 v8, v12, 1
	s_movk_i32 s14, 0x204
	s_waitcnt vmcnt(0)
	v_cvt_f32_i32_e32 v6, v3
	v_ldexp_f32 v3, v10, 1
	v_add_f32_e32 v10, v7, v11
	v_sub_f32_e32 v7, v10, v7
	v_sub_f32_e32 v7, v11, v7
	v_add_f32_e32 v11, v14, v9
	v_sub_f32_e32 v12, v11, v14
	v_sub_f32_e32 v9, v9, v12
	;; [unrolled: 3-line block ×3, first 2 shown]
	v_add_f32_e32 v3, v3, v9
	v_add_f32_e32 v3, v3, v8
	;; [unrolled: 1-line block ×3, first 2 shown]
	v_sub_f32_e32 v9, v8, v12
	v_sub_f32_e32 v3, v3, v9
	v_add_f32_e32 v9, v10, v8
	v_sub_f32_e32 v11, v9, v10
	v_sub_f32_e32 v12, v9, v11
	;; [unrolled: 1-line block ×4, first 2 shown]
	v_add_f32_e32 v11, v7, v3
	v_add_f32_e32 v10, v8, v10
	v_sub_f32_e32 v8, v11, v7
	v_sub_f32_e32 v12, v11, v8
	;; [unrolled: 1-line block ×4, first 2 shown]
	v_add_f32_e32 v12, v3, v7
	v_ashrrev_i32_e32 v3, 31, v2
	v_lshlrev_b64 v[7:8], 2, v[2:3]
	v_mov_b32_e32 v3, s1
	v_add_co_u32_e32 v7, vcc, s0, v7
	v_addc_co_u32_e32 v8, vcc, v3, v8, vcc
	global_load_dword v3, v[7:8], off
	v_add_f32_e32 v7, v11, v10
	v_add_f32_e32 v8, v9, v7
	v_sub_f32_e32 v9, v8, v9
	v_sub_f32_e32 v7, v7, v9
	v_add_f32_e32 v7, v12, v7
	v_add_f32_e32 v9, v8, v7
	v_sub_f32_e32 v8, v9, v8
	v_sub_f32_e32 v7, v7, v8
	v_mul_f32_e32 v8, v5, v9
	v_fma_f32 v9, v5, v9, -v8
	v_fmac_f32_e32 v9, v5, v7
	v_add_f32_e32 v7, v8, v9
	v_cmp_class_f32_e64 vcc, v8, s14
	v_sub_f32_e32 v10, v7, v8
	v_cndmask_b32_e32 v7, v7, v8, vcc
	s_mov_b32 s0, 0x42b17218
	v_mov_b32_e32 v8, 0x37000000
	v_cmp_eq_f32_e32 vcc, s0, v7
	v_cndmask_b32_e32 v8, 0, v8, vcc
	v_sub_f32_e32 v9, v9, v10
	v_sub_f32_e32 v10, v7, v8
	s_mov_b32 s1, 0x3fb8aa3b
	v_mul_f32_e32 v11, 0x3fb8aa3b, v10
	v_fma_f32 v12, v10, s1, -v11
	v_rndne_f32_e32 v13, v11
	v_fmac_f32_e32 v12, 0x32a5705f, v10
	v_sub_f32_e32 v11, v11, v13
	v_add_f32_e32 v11, v11, v12
	v_exp_f32_e32 v11, v11
	v_cvt_i32_f32_e32 v12, v13
	s_mov_b32 s13, 0x7f800000
	v_cmp_neq_f32_e64 vcc, |v7|, s13
	v_cndmask_b32_e32 v7, 0, v9, vcc
	s_mov_b32 s1, 0xc2ce8ed0
	v_add_f32_e32 v7, v8, v7
	v_ldexp_f32 v8, v11, v12
	v_cmp_ngt_f32_e32 vcc, s1, v10
	v_cndmask_b32_e32 v8, 0, v8, vcc
	v_mov_b32_e32 v9, 0x7f800000
	v_cmp_nlt_f32_e32 vcc, s0, v10
	v_cndmask_b32_e32 v8, v9, v8, vcc
	v_fma_f32 v7, v8, v7, v8
	v_cmp_class_f32_e64 vcc, v8, s14
	v_cndmask_b32_e32 v7, v7, v8, vcc
	v_trunc_f32_e32 v8, v5
	v_cmp_eq_f32_e32 vcc, v8, v5
	v_mul_f32_e32 v8, 0.5, v5
	v_trunc_f32_e32 v11, v8
	v_cmp_neq_f32_e64 s[0:1], v11, v8
	s_and_b64 s[0:1], vcc, s[0:1]
	v_cndmask_b32_e64 v8, 1.0, v4, s[0:1]
	s_brev_b32 s15, -2
	v_mov_b32_e32 v10, 0x7fc00000
	v_bfi_b32 v7, s15, v7, v8
	v_cmp_neq_f32_e64 s[2:3], v5, |v5|
	v_cmp_lt_f32_e64 s[6:7], |v4|, 1.0
	v_cndmask_b32_e32 v8, v10, v7, vcc
	v_cmp_gt_f32_e32 vcc, 0, v4
	s_xor_b64 s[2:3], s[2:3], s[6:7]
	v_cndmask_b32_e32 v7, v7, v8, vcc
	v_cndmask_b32_e64 v8, v9, 0, s[2:3]
	v_cmp_neq_f32_e64 vcc, |v4|, 1.0
	v_cndmask_b32_e32 v8, 1.0, v8, vcc
	v_cmp_class_f32_e64 vcc, v5, s14
	v_cndmask_b32_e32 v7, v7, v8, vcc
	v_cmp_eq_f32_e32 vcc, 0, v4
	v_cmp_gt_f32_e64 s[2:3], 0, v5
	s_xor_b64 s[2:3], s[2:3], vcc
	v_cmp_class_f32_e64 s[6:7], v4, s14
	v_cndmask_b32_e64 v5, v9, 0, s[2:3]
	v_cndmask_b32_e64 v8, 0, v4, s[0:1]
	v_bfi_b32 v5, s15, v5, v8
	s_or_b64 vcc, vcc, s[6:7]
	v_cndmask_b32_e32 v5, v7, v5, vcc
	v_cmp_o_f32_e32 vcc, v4, v4
	v_cndmask_b32_e32 v4, v10, v5, vcc
	v_mul_f32_e32 v4, v4, v6
	s_load_dwordx4 s[4:7], s[4:5], 0x40
	s_waitcnt vmcnt(0)
	v_div_scale_f32 v5, s[0:1], v3, v3, v4
	v_div_scale_f32 v6, vcc, v4, v3, v4
	s_waitcnt lgkmcnt(0)
	v_cmp_eq_f32_e64 s[0:1], s5, 0
	v_rcp_f32_e32 v7, v5
	v_fma_f32 v8, -v5, v7, 1.0
	v_fmac_f32_e32 v7, v8, v7
	v_mul_f32_e32 v8, v6, v7
	v_fma_f32 v9, -v5, v8, v6
	v_fmac_f32_e32 v8, v9, v7
	v_fma_f32 v5, -v5, v8, v6
	v_div_fmas_f32 v5, v5, v7, v8
	s_and_b64 vcc, exec, s[0:1]
	v_div_fixup_f32 v5, v5, v3, v4
	v_mul_f32_e32 v3, s4, v5
	s_cbranch_vccnz .LBB1_9
; %bb.8:
	v_cvt_f32_i32_e32 v2, v2
	v_div_scale_f32 v6, s[0:1], s4, s4, 1.0
	v_mov_b32_e32 v4, s7
	v_sub_f32_e32 v4, s12, v4
	v_subrev_f32_e32 v2, s7, v2
	v_max_f32_e32 v4, 0x3a83126f, v4
	v_div_scale_f32 v7, s[0:1], v4, v4, v2
	v_div_scale_f32 v8, s[0:1], 1.0, s4, 1.0
	v_div_scale_f32 v9, vcc, v2, v4, v2
	s_mov_b32 s2, 0x3f317217
	v_rcp_f32_e32 v10, v6
	v_fma_f32 v11, -v6, v10, 1.0
	v_fmac_f32_e32 v10, v11, v10
	v_rcp_f32_e32 v12, v7
	v_mul_f32_e32 v11, v8, v10
	v_fma_f32 v13, -v6, v11, v8
	v_fmac_f32_e32 v11, v13, v10
	v_fma_f32 v13, -v7, v12, 1.0
	v_fmac_f32_e32 v12, v13, v12
	v_fma_f32 v6, -v6, v11, v8
	v_mul_f32_e32 v8, v9, v12
	v_fma_f32 v13, -v7, v8, v9
	v_fmac_f32_e32 v8, v13, v12
	v_fma_f32 v7, -v7, v8, v9
	v_div_fmas_f32 v7, v7, v12, v8
	s_mov_b64 vcc, s[0:1]
	v_div_fmas_f32 v6, v6, v10, v11
	s_mov_b32 s0, 0x800000
	v_mov_b32_e32 v8, 0x41b17218
	v_div_fixup_f32 v2, v7, v4, v2 clamp
	v_sub_f32_e32 v2, 1.0, v2
	v_div_fixup_f32 v4, v6, s4, 1.0
	v_cmp_gt_f32_e32 vcc, s0, v4
	s_and_b64 s[0:1], vcc, exec
	s_cselect_b32 s0, 32, 0
	v_ldexp_f32 v4, v4, s0
	v_log_f32_e32 v4, v4
	v_mul_f32_e32 v6, s5, v2
	v_fma_f32 v2, -s5, v2, 1.0
	v_mul_f32_e32 v3, v2, v3
	v_mul_f32_e32 v2, 0x3f317217, v4
	v_fma_f32 v2, v4, s2, -v2
	v_fmac_f32_e32 v2, 0x3377d1cf, v4
	v_cndmask_b32_e32 v7, 0, v8, vcc
	v_fmac_f32_e32 v2, 0x3f317217, v4
	v_cmp_lt_f32_e64 vcc, |v4|, s13
	v_cndmask_b32_e32 v2, v4, v2, vcc
	v_sub_f32_e32 v2, v2, v7
	s_mov_b32 s0, 0x3dcccccd
	v_fma_f32 v2, v2, s0, 1.0
	v_fmac_f32_e32 v3, v6, v5
	v_mul_f32_e32 v4, s6, v2
	s_branch .LBB1_10
.LBB1_9:
	v_mov_b32_e32 v4, s6
.LBB1_10:
	v_and_b32_e32 v5, 0x7fffffff, v3
	s_brev_b32 s0, 18
	v_cmp_nlt_f32_e64 s[6:7], |v3|, s0
	v_lshrrev_b32_e32 v2, 23, v5
                                        ; implicit-def: $vgpr7
                                        ; implicit-def: $vgpr6
	s_and_saveexec_b64 s[0:1], s[6:7]
	s_xor_b64 s[12:13], exec, s[0:1]
	s_cbranch_execz .LBB1_12
; %bb.11:
	v_and_b32_e32 v6, 0x7fffff, v5
	v_or_b32_e32 v15, 0x800000, v6
	s_mov_b32 s0, 0xfe5163ab
	v_mad_u64_u32 v[6:7], s[0:1], v15, s0, 0
	v_mov_b32_e32 v8, 0
	s_mov_b32 s0, 0x3c439041
	v_mad_u64_u32 v[9:10], s[0:1], v15, s0, v[7:8]
	s_mov_b32 s0, 0xdb629599
	v_add_u32_e32 v14, 0xffffff88, v2
	v_mov_b32_e32 v7, v10
	v_mad_u64_u32 v[10:11], s[0:1], v15, s0, v[7:8]
	s_mov_b32 s0, 0xf534ddc0
	v_not_b32_e32 v16, 63
	v_mov_b32_e32 v7, v11
	v_mad_u64_u32 v[11:12], s[0:1], v15, s0, v[7:8]
	s_mov_b32 s0, 0xfc2757d1
	v_cmp_lt_u32_e32 vcc, 63, v14
	v_mov_b32_e32 v7, v12
	v_mad_u64_u32 v[12:13], s[0:1], v15, s0, v[7:8]
	v_cndmask_b32_e32 v7, 0, v16, vcc
	v_add_u32_e32 v16, v7, v14
	v_mov_b32_e32 v7, v13
	s_mov_b32 s0, 0x4e441529
	v_mad_u64_u32 v[13:14], s[0:1], v15, s0, v[7:8]
	v_not_b32_e32 v17, 31
	v_cmp_lt_u32_e64 s[0:1], 31, v16
	v_cndmask_b32_e64 v7, 0, v17, s[0:1]
	v_add_u32_e32 v16, v7, v16
	v_mov_b32_e32 v7, v14
	s_mov_b32 s2, 0xa2f9836e
	v_mad_u64_u32 v[7:8], s[2:3], v15, s2, v[7:8]
	v_cmp_lt_u32_e64 s[2:3], 31, v16
	v_cndmask_b32_e64 v14, 0, v17, s[2:3]
	v_cndmask_b32_e32 v15, v13, v11, vcc
	v_cndmask_b32_e32 v7, v7, v12, vcc
	;; [unrolled: 1-line block ×3, first 2 shown]
	v_add_u32_e32 v14, v14, v16
	v_cndmask_b32_e64 v16, v7, v15, s[0:1]
	v_cndmask_b32_e64 v7, v8, v7, s[0:1]
	v_cndmask_b32_e32 v8, v12, v10, vcc
	v_cndmask_b32_e64 v12, v15, v8, s[0:1]
	v_cndmask_b32_e32 v9, v11, v9, vcc
	v_cndmask_b32_e64 v7, v7, v16, s[2:3]
	v_cndmask_b32_e64 v13, v16, v12, s[2:3]
	v_sub_u32_e32 v15, 32, v14
	v_cndmask_b32_e64 v8, v8, v9, s[0:1]
	v_alignbit_b32 v16, v7, v13, v15
	v_cmp_eq_u32_e64 s[4:5], 0, v14
	v_cndmask_b32_e64 v11, v12, v8, s[2:3]
	v_cndmask_b32_e64 v7, v16, v7, s[4:5]
	v_alignbit_b32 v12, v13, v11, v15
	v_cndmask_b32_e32 v6, v10, v6, vcc
	v_cndmask_b32_e64 v12, v12, v13, s[4:5]
	v_bfe_u32 v16, v7, 29, 1
	v_cndmask_b32_e64 v6, v9, v6, s[0:1]
	v_alignbit_b32 v13, v7, v12, 30
	v_sub_u32_e32 v17, 0, v16
	v_cndmask_b32_e64 v6, v8, v6, s[2:3]
	v_xor_b32_e32 v13, v13, v17
	v_alignbit_b32 v8, v11, v6, v15
	v_cndmask_b32_e64 v8, v8, v11, s[4:5]
	v_ffbh_u32_e32 v10, v13
	v_alignbit_b32 v9, v12, v8, 30
	v_min_u32_e32 v10, 32, v10
	v_alignbit_b32 v6, v8, v6, 30
	v_xor_b32_e32 v9, v9, v17
	v_sub_u32_e32 v11, 31, v10
	v_xor_b32_e32 v6, v6, v17
	v_alignbit_b32 v12, v13, v9, v11
	v_alignbit_b32 v6, v9, v6, v11
	;; [unrolled: 1-line block ×3, first 2 shown]
	v_ffbh_u32_e32 v9, v8
	v_min_u32_e32 v9, 32, v9
	v_lshrrev_b32_e32 v14, 29, v7
	v_not_b32_e32 v11, v9
	v_alignbit_b32 v6, v8, v6, v11
	v_lshlrev_b32_e32 v8, 31, v14
	v_or_b32_e32 v11, 0x33000000, v8
	v_add_lshl_u32 v9, v9, v10, 23
	v_lshrrev_b32_e32 v6, 9, v6
	v_sub_u32_e32 v9, v11, v9
	v_or_b32_e32 v8, 0.5, v8
	v_lshlrev_b32_e32 v10, 23, v10
	v_or_b32_e32 v6, v9, v6
	v_lshrrev_b32_e32 v9, 9, v12
	v_sub_u32_e32 v8, v8, v10
	v_or_b32_e32 v8, v9, v8
	s_mov_b32 s0, 0x3fc90fda
	v_mul_f32_e32 v9, 0x3fc90fda, v8
	v_fma_f32 v10, v8, s0, -v9
	v_fmac_f32_e32 v10, 0x33a22168, v8
	v_fmac_f32_e32 v10, 0x3fc90fda, v6
	v_lshrrev_b32_e32 v7, 30, v7
	v_add_f32_e32 v6, v9, v10
	v_add_u32_e32 v7, v16, v7
	s_andn2_saveexec_b64 s[0:1], s[12:13]
	s_cbranch_execz .LBB1_14
	s_branch .LBB1_13
.LBB1_12:
	s_andn2_saveexec_b64 s[0:1], s[12:13]
	s_cbranch_execz .LBB1_14
.LBB1_13:
	s_mov_b32 s2, 0x3f22f983
	v_mul_f32_e64 v6, |v3|, s2
	v_rndne_f32_e32 v8, v6
	s_mov_b32 s2, 0xbfc90fda
	v_cvt_i32_f32_e32 v7, v8
	v_fma_f32 v6, v8, s2, |v3|
	v_fmac_f32_e32 v6, 0xb3a22168, v8
	v_fmac_f32_e32 v6, 0xa7c234c4, v8
.LBB1_14:
	s_or_b64 exec, exec, s[0:1]
                                        ; implicit-def: $vgpr9
                                        ; implicit-def: $vgpr8
	s_and_saveexec_b64 s[0:1], s[6:7]
	s_xor_b64 s[6:7], exec, s[0:1]
	s_cbranch_execz .LBB1_16
; %bb.15:
	v_and_b32_e32 v8, 0x7fffff, v5
	v_or_b32_e32 v17, 0x800000, v8
	s_mov_b32 s0, 0xfe5163ab
	v_mad_u64_u32 v[8:9], s[0:1], v17, s0, 0
	v_mov_b32_e32 v10, 0
	s_mov_b32 s0, 0x3c439041
	v_mad_u64_u32 v[11:12], s[0:1], v17, s0, v[9:10]
	s_mov_b32 s0, 0xdb629599
	v_add_u32_e32 v2, 0xffffff88, v2
	v_mov_b32_e32 v9, v12
	v_mad_u64_u32 v[12:13], s[0:1], v17, s0, v[9:10]
	s_mov_b32 s0, 0xf534ddc0
	v_not_b32_e32 v16, 63
	v_mov_b32_e32 v9, v13
	v_mad_u64_u32 v[13:14], s[0:1], v17, s0, v[9:10]
	s_mov_b32 s0, 0xfc2757d1
	v_cmp_lt_u32_e32 vcc, 63, v2
	v_mov_b32_e32 v9, v14
	v_mad_u64_u32 v[14:15], s[0:1], v17, s0, v[9:10]
	v_cndmask_b32_e32 v9, 0, v16, vcc
	v_add_u32_e32 v2, v9, v2
	v_mov_b32_e32 v9, v15
	s_mov_b32 s0, 0x4e441529
	v_mad_u64_u32 v[15:16], s[0:1], v17, s0, v[9:10]
	v_not_b32_e32 v18, 31
	v_cmp_lt_u32_e64 s[0:1], 31, v2
	v_cndmask_b32_e64 v9, 0, v18, s[0:1]
	v_add_u32_e32 v2, v9, v2
	v_mov_b32_e32 v9, v16
	s_mov_b32 s2, 0xa2f9836e
	v_mad_u64_u32 v[9:10], s[2:3], v17, s2, v[9:10]
	v_cmp_lt_u32_e64 s[2:3], 31, v2
	v_cndmask_b32_e64 v16, 0, v18, s[2:3]
	v_add_u32_e32 v2, v16, v2
	v_cndmask_b32_e32 v16, v15, v13, vcc
	v_cndmask_b32_e32 v9, v9, v14, vcc
	;; [unrolled: 1-line block ×3, first 2 shown]
	v_cndmask_b32_e64 v17, v9, v16, s[0:1]
	v_cndmask_b32_e64 v9, v10, v9, s[0:1]
	v_cndmask_b32_e32 v10, v14, v12, vcc
	v_cndmask_b32_e64 v14, v16, v10, s[0:1]
	v_cndmask_b32_e64 v9, v9, v17, s[2:3]
	;; [unrolled: 1-line block ×3, first 2 shown]
	v_sub_u32_e32 v16, 32, v2
	v_alignbit_b32 v17, v9, v15, v16
	v_cmp_eq_u32_e64 s[4:5], 0, v2
	v_cndmask_b32_e64 v2, v17, v9, s[4:5]
	v_cndmask_b32_e32 v9, v13, v11, vcc
	v_cndmask_b32_e64 v10, v10, v9, s[0:1]
	v_cndmask_b32_e64 v11, v14, v10, s[2:3]
	v_alignbit_b32 v13, v15, v11, v16
	v_cndmask_b32_e32 v8, v12, v8, vcc
	v_cndmask_b32_e64 v13, v13, v15, s[4:5]
	v_bfe_u32 v17, v2, 29, 1
	v_cndmask_b32_e64 v8, v9, v8, s[0:1]
	v_alignbit_b32 v14, v2, v13, 30
	v_sub_u32_e32 v18, 0, v17
	v_cndmask_b32_e64 v8, v10, v8, s[2:3]
	v_xor_b32_e32 v14, v14, v18
	v_alignbit_b32 v9, v11, v8, v16
	v_cndmask_b32_e64 v9, v9, v11, s[4:5]
	v_ffbh_u32_e32 v11, v14
	v_alignbit_b32 v10, v13, v9, 30
	v_min_u32_e32 v11, 32, v11
	v_alignbit_b32 v8, v9, v8, 30
	v_xor_b32_e32 v10, v10, v18
	v_sub_u32_e32 v12, 31, v11
	v_xor_b32_e32 v8, v8, v18
	v_alignbit_b32 v13, v14, v10, v12
	v_alignbit_b32 v8, v10, v8, v12
	;; [unrolled: 1-line block ×3, first 2 shown]
	v_ffbh_u32_e32 v10, v9
	v_min_u32_e32 v10, 32, v10
	v_lshrrev_b32_e32 v15, 29, v2
	v_not_b32_e32 v12, v10
	v_alignbit_b32 v8, v9, v8, v12
	v_lshlrev_b32_e32 v9, 31, v15
	v_or_b32_e32 v12, 0x33000000, v9
	v_add_lshl_u32 v10, v10, v11, 23
	v_lshrrev_b32_e32 v8, 9, v8
	v_sub_u32_e32 v10, v12, v10
	v_or_b32_e32 v9, 0.5, v9
	v_lshlrev_b32_e32 v11, 23, v11
	v_or_b32_e32 v8, v10, v8
	v_lshrrev_b32_e32 v10, 9, v13
	v_sub_u32_e32 v9, v9, v11
	v_or_b32_e32 v9, v10, v9
	s_mov_b32 s0, 0x3fc90fda
	v_mul_f32_e32 v10, 0x3fc90fda, v9
	v_fma_f32 v11, v9, s0, -v10
	v_fmac_f32_e32 v11, 0x33a22168, v9
	v_fmac_f32_e32 v11, 0x3fc90fda, v8
	v_lshrrev_b32_e32 v2, 30, v2
	v_add_f32_e32 v8, v10, v11
	v_add_u32_e32 v9, v17, v2
	s_andn2_saveexec_b64 s[0:1], s[6:7]
	s_cbranch_execnz .LBB1_17
	s_branch .LBB1_18
.LBB1_16:
	s_andn2_saveexec_b64 s[0:1], s[6:7]
	s_cbranch_execz .LBB1_18
.LBB1_17:
	s_mov_b32 s2, 0x3f22f983
	v_mul_f32_e64 v2, |v3|, s2
	v_rndne_f32_e32 v2, v2
	s_mov_b32 s2, 0xbfc90fda
	v_cvt_i32_f32_e32 v9, v2
	v_fma_f32 v8, v2, s2, |v3|
	v_fmac_f32_e32 v8, 0xb3a22168, v2
	v_fmac_f32_e32 v8, 0xa7c234c4, v2
.LBB1_18:
	s_or_b64 exec, exec, s[0:1]
	v_ashrrev_i32_e32 v2, 31, v1
	s_lshr_b32 s0, s17, 31
	v_lshlrev_b64 v[1:2], 2, v[1:2]
	s_add_i32 s0, s17, s0
	s_ashr_i32 s0, s0, 1
	v_mov_b32_e32 v10, s9
	v_add_co_u32_e32 v1, vcc, s8, v1
	s_ashr_i32 s1, s0, 31
	v_addc_co_u32_e32 v2, vcc, v10, v2, vcc
	s_lshl_b64 s[0:1], s[0:1], 2
	v_mov_b32_e32 v12, s1
	v_add_co_u32_e32 v10, vcc, s0, v1
	v_addc_co_u32_e32 v11, vcc, v2, v12, vcc
	global_load_dword v13, v[1:2], off
	global_load_dword v14, v[10:11], off
	v_ashrrev_i32_e32 v1, 31, v0
	v_lshlrev_b64 v[0:1], 2, v[0:1]
	v_mov_b32_e32 v17, s11
	v_add_co_u32_e32 v0, vcc, s10, v0
	v_mul_f32_e32 v2, v6, v6
	v_mov_b32_e32 v16, 0xbab64f3b
	v_addc_co_u32_e32 v1, vcc, v17, v1, vcc
	v_mov_b32_e32 v17, 0xbab64f3b
	v_mul_f32_e32 v19, v8, v8
	v_mov_b32_e32 v10, 0x3c0881c4
	v_mov_b32_e32 v11, 0x3c0881c4
	;; [unrolled: 1-line block ×3, first 2 shown]
	v_fmac_f32_e32 v17, 0x37d75334, v2
	v_fmac_f32_e32 v16, 0x37d75334, v19
	v_mov_b32_e32 v15, 0xbe2aaa9d
	v_fmac_f32_e32 v11, 0xb94c1982, v2
	v_fmac_f32_e32 v10, 0xb94c1982, v19
	v_fma_f32 v17, v2, v17, v18
	v_fmac_f32_e32 v18, v19, v16
	v_lshlrev_b32_e32 v16, 30, v9
	v_fma_f32 v11, v2, v11, v15
	v_fmac_f32_e32 v15, v19, v10
	v_mov_b32_e32 v10, 0xbf000004
	v_xor_b32_e32 v5, v5, v3
	v_and_b32_e32 v16, 0x80000000, v16
	v_xor_b32_e32 v5, v5, v16
	v_and_b32_e32 v16, 1, v7
	v_fma_f32 v17, v2, v17, v10
	v_mul_f32_e32 v11, v2, v11
	v_fmac_f32_e32 v10, v19, v18
	v_and_b32_e32 v9, 1, v9
	v_mul_f32_e32 v15, v19, v15
	v_fmac_f32_e32 v6, v6, v11
	v_fma_f32 v2, v2, v17, 1.0
	v_cmp_eq_u32_e32 vcc, 0, v16
	v_lshlrev_b32_e32 v7, 30, v7
	v_fmac_f32_e32 v8, v8, v15
	v_fma_f32 v10, v19, v10, 1.0
	v_cndmask_b32_e64 v2, -v6, v2, vcc
	v_cmp_eq_u32_e32 vcc, 0, v9
	v_and_b32_e32 v7, 0x80000000, v7
	v_cndmask_b32_e32 v6, v10, v8, vcc
	v_xor_b32_e32 v2, v7, v2
	v_xor_b32_e32 v7, v5, v6
	v_add_co_u32_e32 v5, vcc, s0, v0
	s_movk_i32 s1, 0x1f8
	v_addc_co_u32_e32 v6, vcc, v1, v12, vcc
	v_mov_b32_e32 v18, 0x7fc00000
	v_cmp_class_f32_e64 vcc, v3, s1
	v_cndmask_b32_e32 v3, v18, v7, vcc
	v_cndmask_b32_e32 v2, v18, v2, vcc
	v_mul_f32_e32 v3, v4, v3
	v_mul_f32_e32 v2, v4, v2
	s_waitcnt vmcnt(1)
	v_mul_f32_e32 v4, v13, v3
	s_waitcnt vmcnt(0)
	v_mul_f32_e32 v3, v14, v3
	v_fmac_f32_e32 v4, v2, v14
	v_fma_f32 v2, v2, v13, -v3
	global_store_dword v[0:1], v2, off
	global_store_dword v[5:6], v4, off
.LBB1_19:
	s_endpgm
	.section	.rodata,"a",@progbits
	.p2align	6, 0x0
	.amdhsa_kernel _ZL9rope_neoxILb1ELb1EffEvPKT1_PT2_iiiiiiiiiiPKifff14rope_corr_dimsfPKfPKli
		.amdhsa_group_segment_fixed_size 0
		.amdhsa_private_segment_fixed_size 0
		.amdhsa_kernarg_size 368
		.amdhsa_user_sgpr_count 6
		.amdhsa_user_sgpr_private_segment_buffer 1
		.amdhsa_user_sgpr_dispatch_ptr 0
		.amdhsa_user_sgpr_queue_ptr 0
		.amdhsa_user_sgpr_kernarg_segment_ptr 1
		.amdhsa_user_sgpr_dispatch_id 0
		.amdhsa_user_sgpr_flat_scratch_init 0
		.amdhsa_user_sgpr_private_segment_size 0
		.amdhsa_uses_dynamic_stack 0
		.amdhsa_system_sgpr_private_segment_wavefront_offset 0
		.amdhsa_system_sgpr_workgroup_id_x 1
		.amdhsa_system_sgpr_workgroup_id_y 1
		.amdhsa_system_sgpr_workgroup_id_z 0
		.amdhsa_system_sgpr_workgroup_info 0
		.amdhsa_system_vgpr_workitem_id 1
		.amdhsa_next_free_vgpr 20
		.amdhsa_next_free_sgpr 18
		.amdhsa_reserve_vcc 1
		.amdhsa_reserve_flat_scratch 0
		.amdhsa_float_round_mode_32 0
		.amdhsa_float_round_mode_16_64 0
		.amdhsa_float_denorm_mode_32 3
		.amdhsa_float_denorm_mode_16_64 3
		.amdhsa_dx10_clamp 1
		.amdhsa_ieee_mode 1
		.amdhsa_fp16_overflow 0
		.amdhsa_exception_fp_ieee_invalid_op 0
		.amdhsa_exception_fp_denorm_src 0
		.amdhsa_exception_fp_ieee_div_zero 0
		.amdhsa_exception_fp_ieee_overflow 0
		.amdhsa_exception_fp_ieee_underflow 0
		.amdhsa_exception_fp_ieee_inexact 0
		.amdhsa_exception_int_div_zero 0
	.end_amdhsa_kernel
	.section	.text._ZL9rope_neoxILb1ELb1EffEvPKT1_PT2_iiiiiiiiiiPKifff14rope_corr_dimsfPKfPKli,"axG",@progbits,_ZL9rope_neoxILb1ELb1EffEvPKT1_PT2_iiiiiiiiiiPKifff14rope_corr_dimsfPKfPKli,comdat
.Lfunc_end1:
	.size	_ZL9rope_neoxILb1ELb1EffEvPKT1_PT2_iiiiiiiiiiPKifff14rope_corr_dimsfPKfPKli, .Lfunc_end1-_ZL9rope_neoxILb1ELb1EffEvPKT1_PT2_iiiiiiiiiiPKifff14rope_corr_dimsfPKfPKli
                                        ; -- End function
	.set _ZL9rope_neoxILb1ELb1EffEvPKT1_PT2_iiiiiiiiiiPKifff14rope_corr_dimsfPKfPKli.num_vgpr, 20
	.set _ZL9rope_neoxILb1ELb1EffEvPKT1_PT2_iiiiiiiiiiPKifff14rope_corr_dimsfPKfPKli.num_agpr, 0
	.set _ZL9rope_neoxILb1ELb1EffEvPKT1_PT2_iiiiiiiiiiPKifff14rope_corr_dimsfPKfPKli.numbered_sgpr, 18
	.set _ZL9rope_neoxILb1ELb1EffEvPKT1_PT2_iiiiiiiiiiPKifff14rope_corr_dimsfPKfPKli.num_named_barrier, 0
	.set _ZL9rope_neoxILb1ELb1EffEvPKT1_PT2_iiiiiiiiiiPKifff14rope_corr_dimsfPKfPKli.private_seg_size, 0
	.set _ZL9rope_neoxILb1ELb1EffEvPKT1_PT2_iiiiiiiiiiPKifff14rope_corr_dimsfPKfPKli.uses_vcc, 1
	.set _ZL9rope_neoxILb1ELb1EffEvPKT1_PT2_iiiiiiiiiiPKifff14rope_corr_dimsfPKfPKli.uses_flat_scratch, 0
	.set _ZL9rope_neoxILb1ELb1EffEvPKT1_PT2_iiiiiiiiiiPKifff14rope_corr_dimsfPKfPKli.has_dyn_sized_stack, 0
	.set _ZL9rope_neoxILb1ELb1EffEvPKT1_PT2_iiiiiiiiiiPKifff14rope_corr_dimsfPKfPKli.has_recursion, 0
	.set _ZL9rope_neoxILb1ELb1EffEvPKT1_PT2_iiiiiiiiiiPKifff14rope_corr_dimsfPKfPKli.has_indirect_call, 0
	.section	.AMDGPU.csdata,"",@progbits
; Kernel info:
; codeLenInByte = 3892
; TotalNumSgprs: 22
; NumVgprs: 20
; ScratchSize: 0
; MemoryBound: 0
; FloatMode: 240
; IeeeMode: 1
; LDSByteSize: 0 bytes/workgroup (compile time only)
; SGPRBlocks: 2
; VGPRBlocks: 4
; NumSGPRsForWavesPerEU: 22
; NumVGPRsForWavesPerEU: 20
; Occupancy: 10
; WaveLimiterHint : 0
; COMPUTE_PGM_RSRC2:SCRATCH_EN: 0
; COMPUTE_PGM_RSRC2:USER_SGPR: 6
; COMPUTE_PGM_RSRC2:TRAP_HANDLER: 0
; COMPUTE_PGM_RSRC2:TGID_X_EN: 1
; COMPUTE_PGM_RSRC2:TGID_Y_EN: 1
; COMPUTE_PGM_RSRC2:TGID_Z_EN: 0
; COMPUTE_PGM_RSRC2:TIDIG_COMP_CNT: 1
	.section	.text._ZL9rope_neoxILb1ELb0Ef6__halfEvPKT1_PT2_iiiiiiiiiiPKifff14rope_corr_dimsfPKfPKli,"axG",@progbits,_ZL9rope_neoxILb1ELb0Ef6__halfEvPKT1_PT2_iiiiiiiiiiPKifff14rope_corr_dimsfPKfPKli,comdat
	.globl	_ZL9rope_neoxILb1ELb0Ef6__halfEvPKT1_PT2_iiiiiiiiiiPKifff14rope_corr_dimsfPKfPKli ; -- Begin function _ZL9rope_neoxILb1ELb0Ef6__halfEvPKT1_PT2_iiiiiiiiiiPKifff14rope_corr_dimsfPKfPKli
	.p2align	8
	.type	_ZL9rope_neoxILb1ELb0Ef6__halfEvPKT1_PT2_iiiiiiiiiiPKifff14rope_corr_dimsfPKfPKli,@function
_ZL9rope_neoxILb1ELb0Ef6__halfEvPKT1_PT2_iiiiiiiiiiPKifff14rope_corr_dimsfPKfPKli: ; @_ZL9rope_neoxILb1ELb0Ef6__halfEvPKT1_PT2_iiiiiiiiiiPKifff14rope_corr_dimsfPKfPKli
; %bb.0:
	s_load_dword s2, s[4:5], 0x7c
	s_load_dwordx8 s[8:15], s[4:5], 0x10
	s_add_u32 s0, s4, 0x70
	s_addc_u32 s1, s5, 0
	s_waitcnt lgkmcnt(0)
	s_lshr_b32 s2, s2, 16
	s_mul_i32 s7, s7, s2
	v_add_lshl_u32 v5, s7, v1, 1
	v_cmp_gt_i32_e32 vcc, s8, v5
	s_and_saveexec_b64 s[2:3], vcc
	s_cbranch_execz .LBB2_19
; %bb.1:
	s_mul_i32 s2, s10, s9
	s_abs_i32 s3, s2
	v_cvt_f32_u32_e32 v1, s3
	s_load_dword s0, s[0:1], 0xc
	s_sub_i32 s1, 0, s3
	v_cvt_f32_u32_e32 v2, s9
	v_rcp_iflag_f32_e32 v1, v1
	s_waitcnt lgkmcnt(0)
	s_and_b32 s0, s0, 0xffff
	s_mul_i32 s6, s6, s0
	v_mul_f32_e32 v1, 0x4f7ffffe, v1
	v_cvt_u32_f32_e32 v1, v1
	v_add_u32_e32 v0, s6, v0
	v_sub_u32_e32 v4, 0, v0
	v_max_i32_e32 v4, v0, v4
	v_mul_lo_u32 v3, s1, v1
	v_rcp_iflag_f32_e32 v2, v2
	s_sub_i32 s0, 0, s9
	v_xor_b32_e32 v6, s2, v0
	v_mul_hi_u32 v3, v1, v3
	v_mul_f32_e32 v2, 0x4f7ffffe, v2
	v_cvt_u32_f32_e32 v2, v2
	v_ashrrev_i32_e32 v6, 31, v6
	v_add_u32_e32 v1, v1, v3
	v_mul_hi_u32 v1, v4, v1
	v_mul_lo_u32 v3, s0, v2
	s_load_dword s0, s[4:5], 0x68
	s_load_dwordx2 s[6:7], s[4:5], 0x30
	v_mul_lo_u32 v7, v1, s3
	v_add_u32_e32 v8, 1, v1
	v_mul_hi_u32 v3, v2, v3
	s_waitcnt lgkmcnt(0)
	s_cmp_eq_u32 s0, 0
	v_sub_u32_e32 v4, v4, v7
	v_cmp_le_u32_e32 vcc, s3, v4
	v_subrev_u32_e32 v7, s3, v4
	v_cndmask_b32_e32 v1, v1, v8, vcc
	v_cndmask_b32_e32 v4, v4, v7, vcc
	v_add_u32_e32 v7, 1, v1
	v_cmp_le_u32_e32 vcc, s3, v4
	v_cndmask_b32_e32 v1, v1, v7, vcc
	v_xor_b32_e32 v1, v1, v6
	v_sub_u32_e32 v6, v1, v6
	v_mul_lo_u32 v1, s2, v6
	v_add_u32_e32 v2, v2, v3
	v_sub_u32_e32 v7, v0, v1
	v_mul_hi_u32 v0, v7, v2
	v_mul_lo_u32 v1, v0, s9
	v_add_u32_e32 v2, 1, v0
	v_sub_u32_e32 v1, v7, v1
	v_cmp_le_u32_e32 vcc, s9, v1
	v_cndmask_b32_e32 v0, v0, v2, vcc
	v_subrev_u32_e32 v2, s9, v1
	v_cndmask_b32_e32 v1, v1, v2, vcc
	v_add_u32_e32 v2, 1, v0
	v_cmp_le_u32_e32 vcc, s9, v1
	v_cndmask_b32_e32 v3, v0, v2, vcc
	s_cbranch_scc1 .LBB2_3
; %bb.2:
	s_load_dwordx2 s[2:3], s[4:5], 0x60
	v_mov_b32_e32 v4, 0
	v_lshlrev_b64 v[0:1], 3, v[3:4]
	s_waitcnt lgkmcnt(0)
	v_mov_b32_e32 v2, s3
	v_add_co_u32_e32 v0, vcc, s2, v0
	v_addc_co_u32_e32 v1, vcc, v2, v1, vcc
	global_load_dword v0, v[0:1], off
	s_waitcnt vmcnt(0)
	v_mul_lo_u32 v0, s0, v0
	s_branch .LBB2_4
.LBB2_3:
	v_mul_lo_u32 v0, v6, s6
	v_mad_u64_u32 v[0:1], s[0:1], v3, s15, v[0:1]
.LBB2_4:
	v_mul_lo_u32 v1, v3, s9
	v_ashrrev_i32_e32 v2, 1, v5
	v_mul_lo_u32 v4, v3, s12
	v_cmp_le_i32_e32 vcc, s7, v5
	v_sub_u32_e32 v1, v7, v1
	v_mad_u64_u32 v[6:7], s[0:1], v6, s13, v[2:3]
	v_mul_lo_u32 v8, v1, s11
	v_mul_lo_u32 v7, v1, s14
	s_load_dwordx4 s[8:11], s[4:5], 0x0
	v_add3_u32 v1, v6, v4, v8
	v_add3_u32 v0, v7, v2, v0
	s_and_saveexec_b64 s[0:1], vcc
	s_xor_b64 s[0:1], exec, s[0:1]
	s_cbranch_execz .LBB2_6
; %bb.5:
	v_add_u32_e32 v3, v1, v2
	v_ashrrev_i32_e32 v4, 31, v3
	v_lshlrev_b64 v[3:4], 2, v[3:4]
	s_waitcnt lgkmcnt(0)
	v_mov_b32_e32 v1, s9
	v_add_co_u32_e32 v3, vcc, s8, v3
	v_addc_co_u32_e32 v4, vcc, v1, v4, vcc
	global_load_dword v5, v[3:4], off
	v_add_u32_e32 v0, v0, v2
	v_ashrrev_i32_e32 v1, 31, v0
	v_lshlrev_b64 v[0:1], 1, v[0:1]
	v_mov_b32_e32 v2, s11
	v_add_co_u32_e32 v0, vcc, s10, v0
	v_addc_co_u32_e32 v1, vcc, v2, v1, vcc
	s_waitcnt vmcnt(0)
	v_cvt_f16_f32_e32 v5, v5
	global_store_short v[0:1], v5, off
	global_load_dword v2, v[3:4], off offset:4
                                        ; implicit-def: $vgpr3
                                        ; implicit-def: $vgpr5
	s_waitcnt vmcnt(0)
	v_cvt_f16_f32_e32 v2, v2
	global_store_short v[0:1], v2, off offset:2
                                        ; implicit-def: $vgpr1
                                        ; implicit-def: $vgpr0
                                        ; implicit-def: $vgpr2
.LBB2_6:
	s_andn2_saveexec_b64 s[0:1], s[0:1]
	s_cbranch_execz .LBB2_19
; %bb.7:
	s_load_dwordx2 s[0:1], s[4:5], 0x38
	v_mov_b32_e32 v4, 0
	v_lshlrev_b64 v[3:4], 2, v[3:4]
	v_mov_b32_e32 v9, 0x3ecccdef
	s_brev_b32 s6, -2
	s_waitcnt lgkmcnt(0)
	v_mov_b32_e32 v6, s1
	v_add_co_u32_e32 v3, vcc, s0, v3
	v_addc_co_u32_e32 v4, vcc, v6, v4, vcc
	global_load_dword v6, v[3:4], off
	s_load_dwordx4 s[12:15], s[4:5], 0x40
	s_load_dwordx2 s[16:17], s[4:5], 0x50
	v_cvt_f32_i32_e32 v3, v5
	s_mov_b32 s0, 0x3f2aaaab
	v_mov_b32_e32 v5, 0x3e91f4c4
	s_mov_b32 s1, 0x3f317218
	v_mul_f32_e32 v3, 0.5, v3
	s_waitcnt lgkmcnt(0)
	v_cmp_neq_f32_e64 vcc, s17, 1.0
	v_cndmask_b32_e32 v4, 1.0, v3, vcc
	v_mov_b32_e32 v3, s17
	v_cmp_neq_f32_e32 vcc, 0, v4
	v_cndmask_b32_e32 v3, 1.0, v3, vcc
	v_frexp_mant_f32_e64 v10, |v3|
	v_cmp_gt_f32_e32 vcc, s0, v10
	v_cndmask_b32_e64 v11, 1.0, 2.0, vcc
	v_mul_f32_e32 v10, v10, v11
	v_add_f32_e32 v12, 1.0, v10
	v_cvt_f64_f32_e64 v[7:8], |v3|
	v_rcp_f32_e32 v13, v12
	v_add_f32_e32 v11, -1.0, v10
	v_add_f32_e32 v14, -1.0, v12
	v_frexp_exp_i32_f64_e32 v7, v[7:8]
	v_sub_f32_e32 v8, v10, v14
	v_mul_f32_e32 v10, v11, v13
	v_mul_f32_e32 v14, v12, v10
	v_fma_f32 v12, v10, v12, -v14
	v_fmac_f32_e32 v12, v10, v8
	v_add_f32_e32 v8, v14, v12
	v_sub_f32_e32 v15, v11, v8
	v_sub_f32_e32 v14, v8, v14
	;; [unrolled: 1-line block ×5, first 2 shown]
	v_add_f32_e32 v8, v12, v8
	v_add_f32_e32 v8, v15, v8
	v_mul_f32_e32 v8, v13, v8
	v_add_f32_e32 v12, v10, v8
	v_sub_f32_e32 v10, v12, v10
	v_mul_f32_e32 v13, v12, v12
	v_sub_f32_e32 v8, v8, v10
	v_fma_f32 v10, v12, v12, -v13
	v_add_f32_e32 v14, v8, v8
	v_fmac_f32_e32 v10, v12, v14
	v_add_f32_e32 v14, v13, v10
	v_fmac_f32_e32 v5, 0x3e76c4e1, v14
	v_sub_f32_e32 v13, v14, v13
	v_mul_f32_e32 v15, v12, v14
	v_fmac_f32_e32 v9, v14, v5
	v_sub_f32_e32 v5, v10, v13
	v_fma_f32 v10, v14, v12, -v15
	v_fmac_f32_e32 v10, v14, v8
	v_mul_f32_e32 v13, v14, v9
	v_fmac_f32_e32 v10, v5, v12
	v_fma_f32 v14, v14, v9, -v13
	v_add_f32_e32 v16, v15, v10
	v_fmac_f32_e32 v14, v5, v9
	v_sub_f32_e32 v5, v16, v15
	v_add_f32_e32 v9, v13, v14
	v_sub_f32_e32 v5, v10, v5
	v_add_f32_e32 v10, 0x3f2aaaaa, v9
	v_sub_f32_e32 v13, v9, v13
	v_sub_f32_e32 v13, v14, v13
	v_add_f32_e32 v14, 0xbf2aaaaa, v10
	v_subbrev_co_u32_e32 v7, vcc, 0, v7, vcc
	v_add_f32_e32 v13, 0x31739010, v13
	v_sub_f32_e32 v9, v9, v14
	v_cvt_f32_i32_e32 v7, v7
	v_add_f32_e32 v9, v13, v9
	v_add_f32_e32 v13, v10, v9
	v_sub_f32_e32 v10, v10, v13
	v_mul_f32_e32 v14, v16, v13
	v_add_f32_e32 v9, v9, v10
	v_fma_f32 v10, v16, v13, -v14
	v_mul_f32_e32 v11, 0x3f317218, v7
	v_fmac_f32_e32 v10, v16, v9
	v_fmac_f32_e32 v10, v5, v13
	s_movk_i32 s5, 0x204
	s_mov_b32 s0, 0x42b17218
	s_mov_b32 s4, 0x7f800000
	s_waitcnt vmcnt(0)
	v_cvt_f32_i32_e32 v5, v6
	v_fma_f32 v6, v7, s1, -v11
	v_fmac_f32_e32 v6, 0xb102e308, v7
	v_add_f32_e32 v9, v11, v6
	v_sub_f32_e32 v11, v9, v11
	v_sub_f32_e32 v6, v6, v11
	v_add_f32_e32 v11, v14, v10
	v_ldexp_f32 v7, v8, 1
	v_ldexp_f32 v8, v12, 1
	v_sub_f32_e32 v12, v11, v14
	v_sub_f32_e32 v10, v10, v12
	v_add_f32_e32 v12, v8, v11
	v_sub_f32_e32 v8, v12, v8
	v_sub_f32_e32 v8, v11, v8
	v_add_f32_e32 v7, v7, v10
	v_add_f32_e32 v7, v7, v8
	;; [unrolled: 1-line block ×3, first 2 shown]
	v_sub_f32_e32 v10, v8, v12
	v_sub_f32_e32 v7, v7, v10
	v_add_f32_e32 v10, v9, v8
	v_sub_f32_e32 v11, v10, v9
	v_sub_f32_e32 v12, v10, v11
	;; [unrolled: 1-line block ×4, first 2 shown]
	v_add_f32_e32 v8, v8, v9
	v_add_f32_e32 v9, v6, v7
	v_sub_f32_e32 v11, v9, v6
	v_sub_f32_e32 v12, v9, v11
	;; [unrolled: 1-line block ×4, first 2 shown]
	v_add_f32_e32 v6, v7, v6
	v_add_f32_e32 v7, v9, v8
	;; [unrolled: 1-line block ×3, first 2 shown]
	v_sub_f32_e32 v9, v8, v10
	v_sub_f32_e32 v7, v7, v9
	v_add_f32_e32 v6, v6, v7
	v_add_f32_e32 v7, v8, v6
	v_sub_f32_e32 v8, v7, v8
	v_sub_f32_e32 v6, v6, v8
	v_mul_f32_e32 v8, v4, v7
	v_fma_f32 v7, v4, v7, -v8
	v_fmac_f32_e32 v7, v4, v6
	v_add_f32_e32 v6, v8, v7
	v_cmp_class_f32_e64 vcc, v8, s5
	v_sub_f32_e32 v9, v6, v8
	v_cndmask_b32_e32 v6, v6, v8, vcc
	v_mov_b32_e32 v8, 0x37000000
	v_cmp_eq_f32_e32 vcc, s0, v6
	v_cndmask_b32_e32 v8, 0, v8, vcc
	v_sub_f32_e32 v7, v7, v9
	v_sub_f32_e32 v9, v6, v8
	s_mov_b32 s1, 0x3fb8aa3b
	v_mul_f32_e32 v10, 0x3fb8aa3b, v9
	v_fma_f32 v11, v9, s1, -v10
	v_rndne_f32_e32 v12, v10
	v_fmac_f32_e32 v11, 0x32a5705f, v9
	v_sub_f32_e32 v10, v10, v12
	v_add_f32_e32 v10, v10, v11
	v_exp_f32_e32 v10, v10
	v_cvt_i32_f32_e32 v11, v12
	v_cmp_neq_f32_e64 vcc, |v6|, s4
	s_mov_b32 s1, 0xc2ce8ed0
	v_cndmask_b32_e32 v6, 0, v7, vcc
	v_ldexp_f32 v7, v10, v11
	v_cmp_ngt_f32_e32 vcc, s1, v9
	v_add_f32_e32 v6, v8, v6
	v_cndmask_b32_e32 v7, 0, v7, vcc
	v_mov_b32_e32 v8, 0x7f800000
	v_cmp_nlt_f32_e32 vcc, s0, v9
	v_cndmask_b32_e32 v7, v8, v7, vcc
	v_fma_f32 v6, v7, v6, v7
	v_cmp_class_f32_e64 vcc, v7, s5
	v_cndmask_b32_e32 v6, v6, v7, vcc
	v_trunc_f32_e32 v7, v4
	v_cmp_eq_f32_e32 vcc, v7, v4
	v_mul_f32_e32 v7, 0.5, v4
	v_trunc_f32_e32 v10, v7
	v_cmp_neq_f32_e64 s[0:1], v10, v7
	s_and_b64 s[0:1], vcc, s[0:1]
	v_cndmask_b32_e64 v7, 1.0, v3, s[0:1]
	v_mov_b32_e32 v9, 0x7fc00000
	v_bfi_b32 v6, s6, v6, v7
	v_cmp_neq_f32_e64 s[2:3], v4, |v4|
	v_cmp_lt_f32_e64 s[18:19], |v3|, 1.0
	v_cndmask_b32_e32 v7, v9, v6, vcc
	v_cmp_gt_f32_e32 vcc, 0, v3
	s_xor_b64 s[2:3], s[2:3], s[18:19]
	v_cndmask_b32_e32 v6, v6, v7, vcc
	v_cndmask_b32_e64 v7, v8, 0, s[2:3]
	v_cmp_neq_f32_e64 vcc, |v3|, 1.0
	v_cndmask_b32_e32 v7, 1.0, v7, vcc
	v_cmp_class_f32_e64 vcc, v4, s5
	v_cndmask_b32_e32 v6, v6, v7, vcc
	v_cmp_eq_f32_e32 vcc, 0, v3
	v_cmp_gt_f32_e64 s[2:3], 0, v4
	s_xor_b64 s[2:3], s[2:3], vcc
	v_cmp_class_f32_e64 s[18:19], v3, s5
	v_cndmask_b32_e64 v4, v8, 0, s[2:3]
	v_cndmask_b32_e64 v7, 0, v3, s[0:1]
	v_bfi_b32 v4, s6, v4, v7
	s_or_b64 vcc, vcc, s[18:19]
	v_cndmask_b32_e32 v4, v6, v4, vcc
	v_cmp_o_f32_e32 vcc, v3, v3
	v_cndmask_b32_e32 v3, v9, v4, vcc
	v_mul_f32_e32 v5, v3, v5
	v_cmp_eq_f32_e64 s[0:1], s13, 0
	v_mul_f32_e32 v3, s12, v5
	s_and_b64 vcc, exec, s[0:1]
	s_cbranch_vccnz .LBB2_9
; %bb.8:
	v_cvt_f32_i32_e32 v2, v2
	v_div_scale_f32 v6, s[0:1], s12, s12, 1.0
	v_mov_b32_e32 v4, s15
	v_sub_f32_e32 v4, s16, v4
	v_subrev_f32_e32 v2, s15, v2
	v_max_f32_e32 v4, 0x3a83126f, v4
	v_div_scale_f32 v7, s[0:1], v4, v4, v2
	v_div_scale_f32 v8, s[0:1], 1.0, s12, 1.0
	v_div_scale_f32 v9, vcc, v2, v4, v2
	s_mov_b32 s2, 0x3f317217
	v_rcp_f32_e32 v10, v6
	v_fma_f32 v11, -v6, v10, 1.0
	v_fmac_f32_e32 v10, v11, v10
	v_rcp_f32_e32 v12, v7
	v_mul_f32_e32 v11, v8, v10
	v_fma_f32 v13, -v6, v11, v8
	v_fmac_f32_e32 v11, v13, v10
	v_fma_f32 v13, -v7, v12, 1.0
	v_fmac_f32_e32 v12, v13, v12
	v_fma_f32 v6, -v6, v11, v8
	v_mul_f32_e32 v8, v9, v12
	v_fma_f32 v13, -v7, v8, v9
	v_fmac_f32_e32 v8, v13, v12
	v_fma_f32 v7, -v7, v8, v9
	v_div_fmas_f32 v7, v7, v12, v8
	s_mov_b64 vcc, s[0:1]
	v_div_fmas_f32 v6, v6, v10, v11
	s_mov_b32 s0, 0x800000
	v_mov_b32_e32 v8, 0x41b17218
	v_div_fixup_f32 v2, v7, v4, v2 clamp
	v_sub_f32_e32 v2, 1.0, v2
	v_div_fixup_f32 v4, v6, s12, 1.0
	v_cmp_gt_f32_e32 vcc, s0, v4
	s_and_b64 s[0:1], vcc, exec
	s_cselect_b32 s0, 32, 0
	v_ldexp_f32 v4, v4, s0
	v_log_f32_e32 v4, v4
	v_mul_f32_e32 v6, s13, v2
	v_fma_f32 v2, -s13, v2, 1.0
	v_mul_f32_e32 v3, v2, v3
	v_mul_f32_e32 v2, 0x3f317217, v4
	v_fma_f32 v2, v4, s2, -v2
	v_fmac_f32_e32 v2, 0x3377d1cf, v4
	v_cndmask_b32_e32 v7, 0, v8, vcc
	v_fmac_f32_e32 v2, 0x3f317217, v4
	v_cmp_lt_f32_e64 vcc, |v4|, s4
	v_cndmask_b32_e32 v2, v4, v2, vcc
	v_sub_f32_e32 v2, v2, v7
	s_mov_b32 s0, 0x3dcccccd
	v_fma_f32 v2, v2, s0, 1.0
	v_fmac_f32_e32 v3, v6, v5
	v_mul_f32_e32 v4, s14, v2
	s_branch .LBB2_10
.LBB2_9:
	v_mov_b32_e32 v4, s14
.LBB2_10:
	v_and_b32_e32 v5, 0x7fffffff, v3
	s_brev_b32 s0, 18
	v_cmp_nlt_f32_e64 s[12:13], |v3|, s0
	v_lshrrev_b32_e32 v2, 23, v5
                                        ; implicit-def: $vgpr7
                                        ; implicit-def: $vgpr6
	s_and_saveexec_b64 s[0:1], s[12:13]
	s_xor_b64 s[14:15], exec, s[0:1]
	s_cbranch_execz .LBB2_12
; %bb.11:
	v_and_b32_e32 v6, 0x7fffff, v5
	v_or_b32_e32 v15, 0x800000, v6
	s_mov_b32 s0, 0xfe5163ab
	v_mad_u64_u32 v[6:7], s[0:1], v15, s0, 0
	v_mov_b32_e32 v8, 0
	s_mov_b32 s0, 0x3c439041
	v_mad_u64_u32 v[9:10], s[0:1], v15, s0, v[7:8]
	s_mov_b32 s0, 0xdb629599
	v_add_u32_e32 v14, 0xffffff88, v2
	v_mov_b32_e32 v7, v10
	v_mad_u64_u32 v[10:11], s[0:1], v15, s0, v[7:8]
	s_mov_b32 s0, 0xf534ddc0
	v_not_b32_e32 v16, 63
	v_mov_b32_e32 v7, v11
	v_mad_u64_u32 v[11:12], s[0:1], v15, s0, v[7:8]
	s_mov_b32 s0, 0xfc2757d1
	v_cmp_lt_u32_e32 vcc, 63, v14
	v_mov_b32_e32 v7, v12
	v_mad_u64_u32 v[12:13], s[0:1], v15, s0, v[7:8]
	v_cndmask_b32_e32 v7, 0, v16, vcc
	v_add_u32_e32 v16, v7, v14
	v_mov_b32_e32 v7, v13
	s_mov_b32 s0, 0x4e441529
	v_mad_u64_u32 v[13:14], s[0:1], v15, s0, v[7:8]
	v_not_b32_e32 v17, 31
	v_cmp_lt_u32_e64 s[0:1], 31, v16
	v_cndmask_b32_e64 v7, 0, v17, s[0:1]
	v_add_u32_e32 v16, v7, v16
	v_mov_b32_e32 v7, v14
	s_mov_b32 s2, 0xa2f9836e
	v_mad_u64_u32 v[7:8], s[2:3], v15, s2, v[7:8]
	v_cmp_lt_u32_e64 s[2:3], 31, v16
	v_cndmask_b32_e64 v14, 0, v17, s[2:3]
	v_cndmask_b32_e32 v15, v13, v11, vcc
	v_cndmask_b32_e32 v7, v7, v12, vcc
	;; [unrolled: 1-line block ×3, first 2 shown]
	v_add_u32_e32 v14, v14, v16
	v_cndmask_b32_e64 v16, v7, v15, s[0:1]
	v_cndmask_b32_e64 v7, v8, v7, s[0:1]
	v_cndmask_b32_e32 v8, v12, v10, vcc
	v_cndmask_b32_e64 v12, v15, v8, s[0:1]
	v_cndmask_b32_e32 v9, v11, v9, vcc
	v_cndmask_b32_e64 v7, v7, v16, s[2:3]
	v_cndmask_b32_e64 v13, v16, v12, s[2:3]
	v_sub_u32_e32 v15, 32, v14
	v_cndmask_b32_e64 v8, v8, v9, s[0:1]
	v_alignbit_b32 v16, v7, v13, v15
	v_cmp_eq_u32_e64 s[4:5], 0, v14
	v_cndmask_b32_e64 v11, v12, v8, s[2:3]
	v_cndmask_b32_e64 v7, v16, v7, s[4:5]
	v_alignbit_b32 v12, v13, v11, v15
	v_cndmask_b32_e32 v6, v10, v6, vcc
	v_cndmask_b32_e64 v12, v12, v13, s[4:5]
	v_bfe_u32 v16, v7, 29, 1
	v_cndmask_b32_e64 v6, v9, v6, s[0:1]
	v_alignbit_b32 v13, v7, v12, 30
	v_sub_u32_e32 v17, 0, v16
	v_cndmask_b32_e64 v6, v8, v6, s[2:3]
	v_xor_b32_e32 v13, v13, v17
	v_alignbit_b32 v8, v11, v6, v15
	v_cndmask_b32_e64 v8, v8, v11, s[4:5]
	v_ffbh_u32_e32 v10, v13
	v_alignbit_b32 v9, v12, v8, 30
	v_min_u32_e32 v10, 32, v10
	v_alignbit_b32 v6, v8, v6, 30
	v_xor_b32_e32 v9, v9, v17
	v_sub_u32_e32 v11, 31, v10
	v_xor_b32_e32 v6, v6, v17
	v_alignbit_b32 v12, v13, v9, v11
	v_alignbit_b32 v6, v9, v6, v11
	;; [unrolled: 1-line block ×3, first 2 shown]
	v_ffbh_u32_e32 v9, v8
	v_min_u32_e32 v9, 32, v9
	v_lshrrev_b32_e32 v14, 29, v7
	v_not_b32_e32 v11, v9
	v_alignbit_b32 v6, v8, v6, v11
	v_lshlrev_b32_e32 v8, 31, v14
	v_or_b32_e32 v11, 0x33000000, v8
	v_add_lshl_u32 v9, v9, v10, 23
	v_lshrrev_b32_e32 v6, 9, v6
	v_sub_u32_e32 v9, v11, v9
	v_or_b32_e32 v8, 0.5, v8
	v_lshlrev_b32_e32 v10, 23, v10
	v_or_b32_e32 v6, v9, v6
	v_lshrrev_b32_e32 v9, 9, v12
	v_sub_u32_e32 v8, v8, v10
	v_or_b32_e32 v8, v9, v8
	s_mov_b32 s0, 0x3fc90fda
	v_mul_f32_e32 v9, 0x3fc90fda, v8
	v_fma_f32 v10, v8, s0, -v9
	v_fmac_f32_e32 v10, 0x33a22168, v8
	v_fmac_f32_e32 v10, 0x3fc90fda, v6
	v_lshrrev_b32_e32 v7, 30, v7
	v_add_f32_e32 v6, v9, v10
	v_add_u32_e32 v7, v16, v7
	s_andn2_saveexec_b64 s[0:1], s[14:15]
	s_cbranch_execz .LBB2_14
	s_branch .LBB2_13
.LBB2_12:
	s_andn2_saveexec_b64 s[0:1], s[14:15]
	s_cbranch_execz .LBB2_14
.LBB2_13:
	s_mov_b32 s2, 0x3f22f983
	v_mul_f32_e64 v6, |v3|, s2
	v_rndne_f32_e32 v8, v6
	s_mov_b32 s2, 0xbfc90fda
	v_cvt_i32_f32_e32 v7, v8
	v_fma_f32 v6, v8, s2, |v3|
	v_fmac_f32_e32 v6, 0xb3a22168, v8
	v_fmac_f32_e32 v6, 0xa7c234c4, v8
.LBB2_14:
	s_or_b64 exec, exec, s[0:1]
                                        ; implicit-def: $vgpr9
                                        ; implicit-def: $vgpr8
	s_and_saveexec_b64 s[0:1], s[12:13]
	s_xor_b64 s[12:13], exec, s[0:1]
	s_cbranch_execz .LBB2_16
; %bb.15:
	v_and_b32_e32 v8, 0x7fffff, v5
	v_or_b32_e32 v17, 0x800000, v8
	s_mov_b32 s0, 0xfe5163ab
	v_mad_u64_u32 v[8:9], s[0:1], v17, s0, 0
	v_mov_b32_e32 v10, 0
	s_mov_b32 s0, 0x3c439041
	v_mad_u64_u32 v[11:12], s[0:1], v17, s0, v[9:10]
	s_mov_b32 s0, 0xdb629599
	v_add_u32_e32 v2, 0xffffff88, v2
	v_mov_b32_e32 v9, v12
	v_mad_u64_u32 v[12:13], s[0:1], v17, s0, v[9:10]
	s_mov_b32 s0, 0xf534ddc0
	v_not_b32_e32 v16, 63
	v_mov_b32_e32 v9, v13
	v_mad_u64_u32 v[13:14], s[0:1], v17, s0, v[9:10]
	s_mov_b32 s0, 0xfc2757d1
	v_cmp_lt_u32_e32 vcc, 63, v2
	v_mov_b32_e32 v9, v14
	v_mad_u64_u32 v[14:15], s[0:1], v17, s0, v[9:10]
	v_cndmask_b32_e32 v9, 0, v16, vcc
	v_add_u32_e32 v2, v9, v2
	v_mov_b32_e32 v9, v15
	s_mov_b32 s0, 0x4e441529
	v_mad_u64_u32 v[15:16], s[0:1], v17, s0, v[9:10]
	v_not_b32_e32 v18, 31
	v_cmp_lt_u32_e64 s[0:1], 31, v2
	v_cndmask_b32_e64 v9, 0, v18, s[0:1]
	v_add_u32_e32 v2, v9, v2
	v_mov_b32_e32 v9, v16
	s_mov_b32 s2, 0xa2f9836e
	v_mad_u64_u32 v[9:10], s[2:3], v17, s2, v[9:10]
	v_cmp_lt_u32_e64 s[2:3], 31, v2
	v_cndmask_b32_e64 v16, 0, v18, s[2:3]
	v_add_u32_e32 v2, v16, v2
	v_cndmask_b32_e32 v16, v15, v13, vcc
	v_cndmask_b32_e32 v9, v9, v14, vcc
	v_cndmask_b32_e32 v10, v10, v15, vcc
	v_cndmask_b32_e64 v17, v9, v16, s[0:1]
	v_cndmask_b32_e64 v9, v10, v9, s[0:1]
	v_cndmask_b32_e32 v10, v14, v12, vcc
	v_cndmask_b32_e64 v14, v16, v10, s[0:1]
	v_cndmask_b32_e64 v9, v9, v17, s[2:3]
	;; [unrolled: 1-line block ×3, first 2 shown]
	v_sub_u32_e32 v16, 32, v2
	v_alignbit_b32 v17, v9, v15, v16
	v_cmp_eq_u32_e64 s[4:5], 0, v2
	v_cndmask_b32_e64 v2, v17, v9, s[4:5]
	v_cndmask_b32_e32 v9, v13, v11, vcc
	v_cndmask_b32_e64 v10, v10, v9, s[0:1]
	v_cndmask_b32_e64 v11, v14, v10, s[2:3]
	v_alignbit_b32 v13, v15, v11, v16
	v_cndmask_b32_e32 v8, v12, v8, vcc
	v_cndmask_b32_e64 v13, v13, v15, s[4:5]
	v_bfe_u32 v17, v2, 29, 1
	v_cndmask_b32_e64 v8, v9, v8, s[0:1]
	v_alignbit_b32 v14, v2, v13, 30
	v_sub_u32_e32 v18, 0, v17
	v_cndmask_b32_e64 v8, v10, v8, s[2:3]
	v_xor_b32_e32 v14, v14, v18
	v_alignbit_b32 v9, v11, v8, v16
	v_cndmask_b32_e64 v9, v9, v11, s[4:5]
	v_ffbh_u32_e32 v11, v14
	v_alignbit_b32 v10, v13, v9, 30
	v_min_u32_e32 v11, 32, v11
	v_alignbit_b32 v8, v9, v8, 30
	v_xor_b32_e32 v10, v10, v18
	v_sub_u32_e32 v12, 31, v11
	v_xor_b32_e32 v8, v8, v18
	v_alignbit_b32 v13, v14, v10, v12
	v_alignbit_b32 v8, v10, v8, v12
	;; [unrolled: 1-line block ×3, first 2 shown]
	v_ffbh_u32_e32 v10, v9
	v_min_u32_e32 v10, 32, v10
	v_lshrrev_b32_e32 v15, 29, v2
	v_not_b32_e32 v12, v10
	v_alignbit_b32 v8, v9, v8, v12
	v_lshlrev_b32_e32 v9, 31, v15
	v_or_b32_e32 v12, 0x33000000, v9
	v_add_lshl_u32 v10, v10, v11, 23
	v_lshrrev_b32_e32 v8, 9, v8
	v_sub_u32_e32 v10, v12, v10
	v_or_b32_e32 v9, 0.5, v9
	v_lshlrev_b32_e32 v11, 23, v11
	v_or_b32_e32 v8, v10, v8
	v_lshrrev_b32_e32 v10, 9, v13
	v_sub_u32_e32 v9, v9, v11
	v_or_b32_e32 v9, v10, v9
	s_mov_b32 s0, 0x3fc90fda
	v_mul_f32_e32 v10, 0x3fc90fda, v9
	v_fma_f32 v11, v9, s0, -v10
	v_fmac_f32_e32 v11, 0x33a22168, v9
	v_fmac_f32_e32 v11, 0x3fc90fda, v8
	v_lshrrev_b32_e32 v2, 30, v2
	v_add_f32_e32 v8, v10, v11
	v_add_u32_e32 v9, v17, v2
	s_andn2_saveexec_b64 s[0:1], s[12:13]
	s_cbranch_execnz .LBB2_17
	s_branch .LBB2_18
.LBB2_16:
	s_andn2_saveexec_b64 s[0:1], s[12:13]
	s_cbranch_execz .LBB2_18
.LBB2_17:
	s_mov_b32 s2, 0x3f22f983
	v_mul_f32_e64 v2, |v3|, s2
	v_rndne_f32_e32 v2, v2
	s_mov_b32 s2, 0xbfc90fda
	v_cvt_i32_f32_e32 v9, v2
	v_fma_f32 v8, v2, s2, |v3|
	v_fmac_f32_e32 v8, 0xb3a22168, v2
	v_fmac_f32_e32 v8, 0xa7c234c4, v2
.LBB2_18:
	s_or_b64 exec, exec, s[0:1]
	v_ashrrev_i32_e32 v2, 31, v1
	s_lshr_b32 s0, s7, 31
	v_lshlrev_b64 v[1:2], 2, v[1:2]
	s_add_i32 s0, s7, s0
	s_ashr_i32 s0, s0, 1
	v_mov_b32_e32 v10, s9
	v_add_co_u32_e32 v1, vcc, s8, v1
	s_ashr_i32 s1, s0, 31
	v_addc_co_u32_e32 v2, vcc, v10, v2, vcc
	s_lshl_b64 s[2:3], s[0:1], 2
	v_mov_b32_e32 v11, s3
	v_add_co_u32_e32 v10, vcc, s2, v1
	v_addc_co_u32_e32 v11, vcc, v2, v11, vcc
	global_load_dword v12, v[1:2], off
	global_load_dword v13, v[10:11], off
	v_ashrrev_i32_e32 v1, 31, v0
	v_lshlrev_b64 v[0:1], 1, v[0:1]
	v_mul_f32_e32 v2, v6, v6
	v_mov_b32_e32 v11, 0x3c0881c4
	v_mov_b32_e32 v16, 0xbab64f3b
	;; [unrolled: 1-line block ×3, first 2 shown]
	v_add_co_u32_e32 v0, vcc, s10, v0
	v_mov_b32_e32 v10, 0x3c0881c4
	v_mov_b32_e32 v14, 0xbe2aaa9d
	;; [unrolled: 1-line block ×3, first 2 shown]
	v_addc_co_u32_e32 v1, vcc, v17, v1, vcc
	v_mov_b32_e32 v17, 0x3d2aabf7
	v_mul_f32_e32 v19, v8, v8
	v_fmac_f32_e32 v11, 0xb94c1982, v2
	v_fmac_f32_e32 v16, 0x37d75334, v2
	v_mov_b32_e32 v18, 0xbf000004
	v_fmac_f32_e32 v10, 0xb94c1982, v19
	v_fma_f32 v11, v2, v11, v14
	v_fmac_f32_e32 v15, 0x37d75334, v19
	v_fma_f32 v16, v2, v16, v17
	v_fmac_f32_e32 v14, v19, v10
	v_and_b32_e32 v10, 1, v7
	v_fmac_f32_e32 v17, v19, v15
	v_mul_f32_e32 v11, v2, v11
	v_fma_f32 v16, v2, v16, v18
	v_lshlrev_b32_e32 v15, 30, v9
	v_and_b32_e32 v9, 1, v9
	v_mul_f32_e32 v14, v19, v14
	v_fmac_f32_e32 v18, v19, v17
	v_fmac_f32_e32 v6, v6, v11
	v_fma_f32 v2, v2, v16, 1.0
	v_cmp_eq_u32_e32 vcc, 0, v10
	v_lshlrev_b32_e32 v7, 30, v7
	v_xor_b32_e32 v5, v5, v3
	v_and_b32_e32 v15, 0x80000000, v15
	v_fmac_f32_e32 v8, v8, v14
	v_fma_f32 v11, v19, v18, 1.0
	v_cndmask_b32_e64 v2, -v6, v2, vcc
	v_cmp_eq_u32_e32 vcc, 0, v9
	v_xor_b32_e32 v5, v5, v15
	v_and_b32_e32 v7, 0x80000000, v7
	s_lshl_b64 s[0:1], s[0:1], 1
	v_cndmask_b32_e32 v6, v11, v8, vcc
	v_mov_b32_e32 v8, s1
	v_xor_b32_e32 v2, v7, v2
	v_xor_b32_e32 v7, v5, v6
	v_add_co_u32_e32 v5, vcc, s0, v0
	s_movk_i32 s2, 0x1f8
	v_addc_co_u32_e32 v6, vcc, v1, v8, vcc
	v_mov_b32_e32 v15, 0x7fc00000
	v_cmp_class_f32_e64 vcc, v3, s2
	v_cndmask_b32_e32 v3, v15, v7, vcc
	v_cndmask_b32_e32 v2, v15, v2, vcc
	v_mul_f32_e32 v3, v4, v3
	v_mul_f32_e32 v2, v4, v2
	s_waitcnt vmcnt(1)
	v_mul_f32_e32 v4, v12, v3
	s_waitcnt vmcnt(0)
	v_mul_f32_e32 v3, v13, v3
	v_fma_mixlo_f16 v4, v2, v13, v4
	v_fma_mixlo_f16 v2, v2, v12, -v3
	global_store_short v[0:1], v2, off
	global_store_short v[5:6], v4, off
.LBB2_19:
	s_endpgm
	.section	.rodata,"a",@progbits
	.p2align	6, 0x0
	.amdhsa_kernel _ZL9rope_neoxILb1ELb0Ef6__halfEvPKT1_PT2_iiiiiiiiiiPKifff14rope_corr_dimsfPKfPKli
		.amdhsa_group_segment_fixed_size 0
		.amdhsa_private_segment_fixed_size 0
		.amdhsa_kernarg_size 368
		.amdhsa_user_sgpr_count 6
		.amdhsa_user_sgpr_private_segment_buffer 1
		.amdhsa_user_sgpr_dispatch_ptr 0
		.amdhsa_user_sgpr_queue_ptr 0
		.amdhsa_user_sgpr_kernarg_segment_ptr 1
		.amdhsa_user_sgpr_dispatch_id 0
		.amdhsa_user_sgpr_flat_scratch_init 0
		.amdhsa_user_sgpr_private_segment_size 0
		.amdhsa_uses_dynamic_stack 0
		.amdhsa_system_sgpr_private_segment_wavefront_offset 0
		.amdhsa_system_sgpr_workgroup_id_x 1
		.amdhsa_system_sgpr_workgroup_id_y 1
		.amdhsa_system_sgpr_workgroup_id_z 0
		.amdhsa_system_sgpr_workgroup_info 0
		.amdhsa_system_vgpr_workitem_id 1
		.amdhsa_next_free_vgpr 20
		.amdhsa_next_free_sgpr 20
		.amdhsa_reserve_vcc 1
		.amdhsa_reserve_flat_scratch 0
		.amdhsa_float_round_mode_32 0
		.amdhsa_float_round_mode_16_64 0
		.amdhsa_float_denorm_mode_32 3
		.amdhsa_float_denorm_mode_16_64 3
		.amdhsa_dx10_clamp 1
		.amdhsa_ieee_mode 1
		.amdhsa_fp16_overflow 0
		.amdhsa_exception_fp_ieee_invalid_op 0
		.amdhsa_exception_fp_denorm_src 0
		.amdhsa_exception_fp_ieee_div_zero 0
		.amdhsa_exception_fp_ieee_overflow 0
		.amdhsa_exception_fp_ieee_underflow 0
		.amdhsa_exception_fp_ieee_inexact 0
		.amdhsa_exception_int_div_zero 0
	.end_amdhsa_kernel
	.section	.text._ZL9rope_neoxILb1ELb0Ef6__halfEvPKT1_PT2_iiiiiiiiiiPKifff14rope_corr_dimsfPKfPKli,"axG",@progbits,_ZL9rope_neoxILb1ELb0Ef6__halfEvPKT1_PT2_iiiiiiiiiiPKifff14rope_corr_dimsfPKfPKli,comdat
.Lfunc_end2:
	.size	_ZL9rope_neoxILb1ELb0Ef6__halfEvPKT1_PT2_iiiiiiiiiiPKifff14rope_corr_dimsfPKfPKli, .Lfunc_end2-_ZL9rope_neoxILb1ELb0Ef6__halfEvPKT1_PT2_iiiiiiiiiiPKifff14rope_corr_dimsfPKfPKli
                                        ; -- End function
	.set _ZL9rope_neoxILb1ELb0Ef6__halfEvPKT1_PT2_iiiiiiiiiiPKifff14rope_corr_dimsfPKfPKli.num_vgpr, 20
	.set _ZL9rope_neoxILb1ELb0Ef6__halfEvPKT1_PT2_iiiiiiiiiiPKifff14rope_corr_dimsfPKfPKli.num_agpr, 0
	.set _ZL9rope_neoxILb1ELb0Ef6__halfEvPKT1_PT2_iiiiiiiiiiPKifff14rope_corr_dimsfPKfPKli.numbered_sgpr, 20
	.set _ZL9rope_neoxILb1ELb0Ef6__halfEvPKT1_PT2_iiiiiiiiiiPKifff14rope_corr_dimsfPKfPKli.num_named_barrier, 0
	.set _ZL9rope_neoxILb1ELb0Ef6__halfEvPKT1_PT2_iiiiiiiiiiPKifff14rope_corr_dimsfPKfPKli.private_seg_size, 0
	.set _ZL9rope_neoxILb1ELb0Ef6__halfEvPKT1_PT2_iiiiiiiiiiPKifff14rope_corr_dimsfPKfPKli.uses_vcc, 1
	.set _ZL9rope_neoxILb1ELb0Ef6__halfEvPKT1_PT2_iiiiiiiiiiPKifff14rope_corr_dimsfPKfPKli.uses_flat_scratch, 0
	.set _ZL9rope_neoxILb1ELb0Ef6__halfEvPKT1_PT2_iiiiiiiiiiPKifff14rope_corr_dimsfPKfPKli.has_dyn_sized_stack, 0
	.set _ZL9rope_neoxILb1ELb0Ef6__halfEvPKT1_PT2_iiiiiiiiiiPKifff14rope_corr_dimsfPKfPKli.has_recursion, 0
	.set _ZL9rope_neoxILb1ELb0Ef6__halfEvPKT1_PT2_iiiiiiiiiiPKifff14rope_corr_dimsfPKfPKli.has_indirect_call, 0
	.section	.AMDGPU.csdata,"",@progbits
; Kernel info:
; codeLenInByte = 3800
; TotalNumSgprs: 24
; NumVgprs: 20
; ScratchSize: 0
; MemoryBound: 0
; FloatMode: 240
; IeeeMode: 1
; LDSByteSize: 0 bytes/workgroup (compile time only)
; SGPRBlocks: 2
; VGPRBlocks: 4
; NumSGPRsForWavesPerEU: 24
; NumVGPRsForWavesPerEU: 20
; Occupancy: 10
; WaveLimiterHint : 0
; COMPUTE_PGM_RSRC2:SCRATCH_EN: 0
; COMPUTE_PGM_RSRC2:USER_SGPR: 6
; COMPUTE_PGM_RSRC2:TRAP_HANDLER: 0
; COMPUTE_PGM_RSRC2:TGID_X_EN: 1
; COMPUTE_PGM_RSRC2:TGID_Y_EN: 1
; COMPUTE_PGM_RSRC2:TGID_Z_EN: 0
; COMPUTE_PGM_RSRC2:TIDIG_COMP_CNT: 1
	.section	.text._ZL9rope_neoxILb1ELb1Ef6__halfEvPKT1_PT2_iiiiiiiiiiPKifff14rope_corr_dimsfPKfPKli,"axG",@progbits,_ZL9rope_neoxILb1ELb1Ef6__halfEvPKT1_PT2_iiiiiiiiiiPKifff14rope_corr_dimsfPKfPKli,comdat
	.globl	_ZL9rope_neoxILb1ELb1Ef6__halfEvPKT1_PT2_iiiiiiiiiiPKifff14rope_corr_dimsfPKfPKli ; -- Begin function _ZL9rope_neoxILb1ELb1Ef6__halfEvPKT1_PT2_iiiiiiiiiiPKifff14rope_corr_dimsfPKfPKli
	.p2align	8
	.type	_ZL9rope_neoxILb1ELb1Ef6__halfEvPKT1_PT2_iiiiiiiiiiPKifff14rope_corr_dimsfPKfPKli,@function
_ZL9rope_neoxILb1ELb1Ef6__halfEvPKT1_PT2_iiiiiiiiiiPKifff14rope_corr_dimsfPKfPKli: ; @_ZL9rope_neoxILb1ELb1Ef6__halfEvPKT1_PT2_iiiiiiiiiiPKifff14rope_corr_dimsfPKfPKli
; %bb.0:
	s_load_dword s2, s[4:5], 0x7c
	s_load_dwordx8 s[8:15], s[4:5], 0x10
	s_add_u32 s0, s4, 0x70
	s_addc_u32 s1, s5, 0
	s_waitcnt lgkmcnt(0)
	s_lshr_b32 s2, s2, 16
	s_mul_i32 s7, s7, s2
	v_add_lshl_u32 v5, s7, v1, 1
	v_cmp_gt_i32_e32 vcc, s8, v5
	s_and_saveexec_b64 s[2:3], vcc
	s_cbranch_execz .LBB3_19
; %bb.1:
	s_mul_i32 s2, s10, s9
	s_abs_i32 s3, s2
	v_cvt_f32_u32_e32 v1, s3
	s_load_dword s0, s[0:1], 0xc
	s_sub_i32 s1, 0, s3
	v_cvt_f32_u32_e32 v2, s9
	v_rcp_iflag_f32_e32 v1, v1
	s_waitcnt lgkmcnt(0)
	s_and_b32 s0, s0, 0xffff
	s_mul_i32 s6, s6, s0
	v_mul_f32_e32 v1, 0x4f7ffffe, v1
	v_cvt_u32_f32_e32 v1, v1
	v_add_u32_e32 v0, s6, v0
	v_sub_u32_e32 v4, 0, v0
	v_max_i32_e32 v4, v0, v4
	v_mul_lo_u32 v3, s1, v1
	v_rcp_iflag_f32_e32 v2, v2
	s_sub_i32 s0, 0, s9
	v_xor_b32_e32 v6, s2, v0
	v_mul_hi_u32 v3, v1, v3
	v_mul_f32_e32 v2, 0x4f7ffffe, v2
	v_cvt_u32_f32_e32 v2, v2
	v_ashrrev_i32_e32 v6, 31, v6
	v_add_u32_e32 v1, v1, v3
	v_mul_hi_u32 v1, v4, v1
	v_mul_lo_u32 v3, s0, v2
	s_load_dword s6, s[4:5], 0x68
	v_mul_lo_u32 v7, v1, s3
	v_add_u32_e32 v8, 1, v1
	v_mul_hi_u32 v3, v2, v3
	s_waitcnt lgkmcnt(0)
	s_cmp_eq_u32 s6, 0
	v_sub_u32_e32 v4, v4, v7
	v_cmp_le_u32_e32 vcc, s3, v4
	v_subrev_u32_e32 v7, s3, v4
	v_cndmask_b32_e32 v1, v1, v8, vcc
	v_cndmask_b32_e32 v4, v4, v7, vcc
	v_add_u32_e32 v7, 1, v1
	v_cmp_le_u32_e32 vcc, s3, v4
	v_cndmask_b32_e32 v1, v1, v7, vcc
	v_xor_b32_e32 v1, v1, v6
	v_sub_u32_e32 v6, v1, v6
	v_mul_lo_u32 v1, s2, v6
	v_add_u32_e32 v2, v2, v3
	s_load_dwordx2 s[16:17], s[4:5], 0x30
	s_load_dwordx4 s[0:3], s[4:5], 0x58
	v_sub_u32_e32 v7, v0, v1
	v_mul_hi_u32 v0, v7, v2
	v_mul_lo_u32 v1, v0, s9
	v_add_u32_e32 v2, 1, v0
	v_sub_u32_e32 v1, v7, v1
	v_cmp_le_u32_e32 vcc, s9, v1
	v_cndmask_b32_e32 v0, v0, v2, vcc
	v_subrev_u32_e32 v2, s9, v1
	v_cndmask_b32_e32 v1, v1, v2, vcc
	v_add_u32_e32 v2, 1, v0
	v_cmp_le_u32_e32 vcc, s9, v1
	v_cndmask_b32_e32 v3, v0, v2, vcc
	s_cbranch_scc1 .LBB3_3
; %bb.2:
	v_mov_b32_e32 v4, 0
	v_lshlrev_b64 v[0:1], 3, v[3:4]
	s_waitcnt lgkmcnt(0)
	v_mov_b32_e32 v2, s3
	v_add_co_u32_e32 v0, vcc, s2, v0
	v_addc_co_u32_e32 v1, vcc, v2, v1, vcc
	global_load_dword v0, v[0:1], off
	s_waitcnt vmcnt(0)
	v_mul_lo_u32 v0, s6, v0
	s_branch .LBB3_4
.LBB3_3:
	s_waitcnt lgkmcnt(0)
	v_mul_lo_u32 v0, v6, s16
	v_mad_u64_u32 v[0:1], s[2:3], v3, s15, v[0:1]
.LBB3_4:
	v_mul_lo_u32 v1, v3, s9
	v_ashrrev_i32_e32 v2, 1, v5
	v_mul_lo_u32 v4, v3, s12
	v_cmp_le_i32_e32 vcc, s17, v5
	v_sub_u32_e32 v1, v7, v1
	v_mad_u64_u32 v[6:7], s[2:3], v6, s13, v[2:3]
	v_mul_lo_u32 v8, v1, s11
	v_mul_lo_u32 v7, v1, s14
	s_load_dwordx4 s[8:11], s[4:5], 0x0
	v_add3_u32 v1, v6, v4, v8
	v_add3_u32 v0, v7, v2, v0
	s_and_saveexec_b64 s[2:3], vcc
	s_xor_b64 s[2:3], exec, s[2:3]
	s_cbranch_execz .LBB3_6
; %bb.5:
	v_add_u32_e32 v3, v1, v2
	v_ashrrev_i32_e32 v4, 31, v3
	v_lshlrev_b64 v[3:4], 2, v[3:4]
	s_waitcnt lgkmcnt(0)
	v_mov_b32_e32 v1, s9
	v_add_co_u32_e32 v3, vcc, s8, v3
	v_addc_co_u32_e32 v4, vcc, v1, v4, vcc
	global_load_dword v5, v[3:4], off
	v_add_u32_e32 v0, v0, v2
	v_ashrrev_i32_e32 v1, 31, v0
	v_lshlrev_b64 v[0:1], 1, v[0:1]
	v_mov_b32_e32 v2, s11
	v_add_co_u32_e32 v0, vcc, s10, v0
	v_addc_co_u32_e32 v1, vcc, v2, v1, vcc
	s_waitcnt vmcnt(0)
	v_cvt_f16_f32_e32 v5, v5
	global_store_short v[0:1], v5, off
	global_load_dword v2, v[3:4], off offset:4
                                        ; implicit-def: $vgpr3
                                        ; implicit-def: $vgpr5
	s_waitcnt vmcnt(0)
	v_cvt_f16_f32_e32 v2, v2
	global_store_short v[0:1], v2, off offset:2
                                        ; implicit-def: $vgpr1
                                        ; implicit-def: $vgpr0
                                        ; implicit-def: $vgpr2
.LBB3_6:
	s_andn2_saveexec_b64 s[2:3], s[2:3]
	s_cbranch_execz .LBB3_19
; %bb.7:
	s_load_dwordx2 s[2:3], s[4:5], 0x38
	s_load_dwordx2 s[12:13], s[4:5], 0x50
	v_mov_b32_e32 v4, 0
	v_lshlrev_b64 v[3:4], 2, v[3:4]
	v_mov_b32_e32 v8, 0x3e91f4c4
	s_waitcnt lgkmcnt(0)
	v_mov_b32_e32 v6, s3
	v_add_co_u32_e32 v3, vcc, s2, v3
	v_addc_co_u32_e32 v4, vcc, v6, v4, vcc
	global_load_dword v3, v[3:4], off
	v_cvt_f32_i32_e32 v4, v5
	v_cmp_neq_f32_e64 vcc, s13, 1.0
	s_mov_b32 s2, 0x3f2aaaab
	v_mov_b32_e32 v9, 0x3ecccdef
	v_mul_f32_e32 v4, 0.5, v4
	v_cndmask_b32_e32 v5, 1.0, v4, vcc
	v_mov_b32_e32 v4, s13
	v_cmp_neq_f32_e32 vcc, 0, v5
	v_cndmask_b32_e32 v4, 1.0, v4, vcc
	v_frexp_mant_f32_e64 v10, |v4|
	v_cmp_gt_f32_e32 vcc, s2, v10
	v_cvt_f64_f32_e64 v[6:7], |v4|
	v_cndmask_b32_e64 v11, 1.0, 2.0, vcc
	v_mul_f32_e32 v10, v10, v11
	v_add_f32_e32 v12, 1.0, v10
	v_rcp_f32_e32 v13, v12
	v_frexp_exp_i32_f64_e32 v6, v[6:7]
	v_add_f32_e32 v11, -1.0, v10
	v_add_f32_e32 v14, -1.0, v12
	v_sub_f32_e32 v7, v10, v14
	v_mul_f32_e32 v10, v11, v13
	v_mul_f32_e32 v14, v12, v10
	v_fma_f32 v12, v10, v12, -v14
	v_fmac_f32_e32 v12, v10, v7
	v_add_f32_e32 v7, v14, v12
	v_subbrev_co_u32_e32 v6, vcc, 0, v6, vcc
	v_sub_f32_e32 v15, v11, v7
	v_sub_f32_e32 v14, v7, v14
	v_cvt_f32_i32_e32 v16, v6
	v_sub_f32_e32 v6, v11, v15
	v_sub_f32_e32 v11, v14, v12
	v_sub_f32_e32 v6, v6, v7
	v_add_f32_e32 v6, v11, v6
	v_add_f32_e32 v6, v15, v6
	v_mul_f32_e32 v6, v13, v6
	v_add_f32_e32 v12, v10, v6
	v_sub_f32_e32 v10, v12, v10
	v_mul_f32_e32 v13, v12, v12
	v_sub_f32_e32 v10, v6, v10
	v_fma_f32 v6, v12, v12, -v13
	v_add_f32_e32 v14, v10, v10
	v_fmac_f32_e32 v6, v12, v14
	v_add_f32_e32 v14, v13, v6
	v_fmac_f32_e32 v8, 0x3e76c4e1, v14
	v_mul_f32_e32 v15, v12, v14
	v_sub_f32_e32 v13, v14, v13
	v_fmac_f32_e32 v9, v14, v8
	v_fma_f32 v8, v14, v12, -v15
	v_sub_f32_e32 v6, v6, v13
	v_fmac_f32_e32 v8, v14, v10
	v_mul_f32_e32 v13, v14, v9
	v_fmac_f32_e32 v8, v6, v12
	v_fma_f32 v14, v14, v9, -v13
	v_add_f32_e32 v17, v15, v8
	v_fmac_f32_e32 v14, v6, v9
	v_sub_f32_e32 v6, v17, v15
	v_add_f32_e32 v9, v13, v14
	v_sub_f32_e32 v6, v8, v6
	v_add_f32_e32 v8, 0x3f2aaaaa, v9
	v_sub_f32_e32 v13, v9, v13
	v_sub_f32_e32 v13, v14, v13
	v_add_f32_e32 v14, 0xbf2aaaaa, v8
	v_add_f32_e32 v13, 0x31739010, v13
	v_sub_f32_e32 v9, v9, v14
	v_add_f32_e32 v9, v13, v9
	v_add_f32_e32 v13, v8, v9
	s_mov_b32 s3, 0x3f317218
	v_mul_f32_e32 v7, 0x3f317218, v16
	v_sub_f32_e32 v8, v8, v13
	v_mul_f32_e32 v14, v17, v13
	v_fma_f32 v11, v16, s3, -v7
	v_add_f32_e32 v8, v9, v8
	v_fma_f32 v9, v17, v13, -v14
	v_fmac_f32_e32 v9, v17, v8
	v_fmac_f32_e32 v11, 0xb102e308, v16
	;; [unrolled: 1-line block ×3, first 2 shown]
	v_ldexp_f32 v8, v12, 1
	s_movk_i32 s14, 0x204
	s_waitcnt vmcnt(0)
	v_cvt_f32_i32_e32 v6, v3
	v_ldexp_f32 v3, v10, 1
	v_add_f32_e32 v10, v7, v11
	v_sub_f32_e32 v7, v10, v7
	v_sub_f32_e32 v7, v11, v7
	v_add_f32_e32 v11, v14, v9
	v_sub_f32_e32 v12, v11, v14
	v_sub_f32_e32 v9, v9, v12
	;; [unrolled: 3-line block ×3, first 2 shown]
	v_add_f32_e32 v3, v3, v9
	v_add_f32_e32 v3, v3, v8
	;; [unrolled: 1-line block ×3, first 2 shown]
	v_sub_f32_e32 v9, v8, v12
	v_sub_f32_e32 v3, v3, v9
	v_add_f32_e32 v9, v10, v8
	v_sub_f32_e32 v11, v9, v10
	v_sub_f32_e32 v12, v9, v11
	v_sub_f32_e32 v10, v10, v12
	v_sub_f32_e32 v8, v8, v11
	v_add_f32_e32 v11, v7, v3
	v_add_f32_e32 v10, v8, v10
	v_sub_f32_e32 v8, v11, v7
	v_sub_f32_e32 v12, v11, v8
	;; [unrolled: 1-line block ×4, first 2 shown]
	v_add_f32_e32 v12, v3, v7
	v_ashrrev_i32_e32 v3, 31, v2
	v_lshlrev_b64 v[7:8], 2, v[2:3]
	v_mov_b32_e32 v3, s1
	v_add_co_u32_e32 v7, vcc, s0, v7
	v_addc_co_u32_e32 v8, vcc, v3, v8, vcc
	global_load_dword v3, v[7:8], off
	v_add_f32_e32 v7, v11, v10
	v_add_f32_e32 v8, v9, v7
	v_sub_f32_e32 v9, v8, v9
	v_sub_f32_e32 v7, v7, v9
	v_add_f32_e32 v7, v12, v7
	v_add_f32_e32 v9, v8, v7
	v_sub_f32_e32 v8, v9, v8
	v_sub_f32_e32 v7, v7, v8
	v_mul_f32_e32 v8, v5, v9
	v_fma_f32 v9, v5, v9, -v8
	v_fmac_f32_e32 v9, v5, v7
	v_add_f32_e32 v7, v8, v9
	v_cmp_class_f32_e64 vcc, v8, s14
	v_sub_f32_e32 v10, v7, v8
	v_cndmask_b32_e32 v7, v7, v8, vcc
	s_mov_b32 s0, 0x42b17218
	v_mov_b32_e32 v8, 0x37000000
	v_cmp_eq_f32_e32 vcc, s0, v7
	v_cndmask_b32_e32 v8, 0, v8, vcc
	v_sub_f32_e32 v9, v9, v10
	v_sub_f32_e32 v10, v7, v8
	s_mov_b32 s1, 0x3fb8aa3b
	v_mul_f32_e32 v11, 0x3fb8aa3b, v10
	v_fma_f32 v12, v10, s1, -v11
	v_rndne_f32_e32 v13, v11
	v_fmac_f32_e32 v12, 0x32a5705f, v10
	v_sub_f32_e32 v11, v11, v13
	v_add_f32_e32 v11, v11, v12
	v_exp_f32_e32 v11, v11
	v_cvt_i32_f32_e32 v12, v13
	s_mov_b32 s13, 0x7f800000
	v_cmp_neq_f32_e64 vcc, |v7|, s13
	v_cndmask_b32_e32 v7, 0, v9, vcc
	s_mov_b32 s1, 0xc2ce8ed0
	v_add_f32_e32 v7, v8, v7
	v_ldexp_f32 v8, v11, v12
	v_cmp_ngt_f32_e32 vcc, s1, v10
	v_cndmask_b32_e32 v8, 0, v8, vcc
	v_mov_b32_e32 v9, 0x7f800000
	v_cmp_nlt_f32_e32 vcc, s0, v10
	v_cndmask_b32_e32 v8, v9, v8, vcc
	v_fma_f32 v7, v8, v7, v8
	v_cmp_class_f32_e64 vcc, v8, s14
	v_cndmask_b32_e32 v7, v7, v8, vcc
	v_trunc_f32_e32 v8, v5
	v_cmp_eq_f32_e32 vcc, v8, v5
	v_mul_f32_e32 v8, 0.5, v5
	v_trunc_f32_e32 v11, v8
	v_cmp_neq_f32_e64 s[0:1], v11, v8
	s_and_b64 s[0:1], vcc, s[0:1]
	v_cndmask_b32_e64 v8, 1.0, v4, s[0:1]
	s_brev_b32 s15, -2
	v_mov_b32_e32 v10, 0x7fc00000
	v_bfi_b32 v7, s15, v7, v8
	v_cmp_neq_f32_e64 s[2:3], v5, |v5|
	v_cmp_lt_f32_e64 s[6:7], |v4|, 1.0
	v_cndmask_b32_e32 v8, v10, v7, vcc
	v_cmp_gt_f32_e32 vcc, 0, v4
	s_xor_b64 s[2:3], s[2:3], s[6:7]
	v_cndmask_b32_e32 v7, v7, v8, vcc
	v_cndmask_b32_e64 v8, v9, 0, s[2:3]
	v_cmp_neq_f32_e64 vcc, |v4|, 1.0
	v_cndmask_b32_e32 v8, 1.0, v8, vcc
	v_cmp_class_f32_e64 vcc, v5, s14
	v_cndmask_b32_e32 v7, v7, v8, vcc
	v_cmp_eq_f32_e32 vcc, 0, v4
	v_cmp_gt_f32_e64 s[2:3], 0, v5
	s_xor_b64 s[2:3], s[2:3], vcc
	v_cmp_class_f32_e64 s[6:7], v4, s14
	v_cndmask_b32_e64 v5, v9, 0, s[2:3]
	v_cndmask_b32_e64 v8, 0, v4, s[0:1]
	v_bfi_b32 v5, s15, v5, v8
	s_or_b64 vcc, vcc, s[6:7]
	v_cndmask_b32_e32 v5, v7, v5, vcc
	v_cmp_o_f32_e32 vcc, v4, v4
	v_cndmask_b32_e32 v4, v10, v5, vcc
	v_mul_f32_e32 v4, v4, v6
	s_load_dwordx4 s[4:7], s[4:5], 0x40
	s_waitcnt vmcnt(0)
	v_div_scale_f32 v5, s[0:1], v3, v3, v4
	v_div_scale_f32 v6, vcc, v4, v3, v4
	s_waitcnt lgkmcnt(0)
	v_cmp_eq_f32_e64 s[0:1], s5, 0
	v_rcp_f32_e32 v7, v5
	v_fma_f32 v8, -v5, v7, 1.0
	v_fmac_f32_e32 v7, v8, v7
	v_mul_f32_e32 v8, v6, v7
	v_fma_f32 v9, -v5, v8, v6
	v_fmac_f32_e32 v8, v9, v7
	v_fma_f32 v5, -v5, v8, v6
	v_div_fmas_f32 v5, v5, v7, v8
	s_and_b64 vcc, exec, s[0:1]
	v_div_fixup_f32 v5, v5, v3, v4
	v_mul_f32_e32 v3, s4, v5
	s_cbranch_vccnz .LBB3_9
; %bb.8:
	v_cvt_f32_i32_e32 v2, v2
	v_div_scale_f32 v6, s[0:1], s4, s4, 1.0
	v_mov_b32_e32 v4, s7
	v_sub_f32_e32 v4, s12, v4
	v_subrev_f32_e32 v2, s7, v2
	v_max_f32_e32 v4, 0x3a83126f, v4
	v_div_scale_f32 v7, s[0:1], v4, v4, v2
	v_div_scale_f32 v8, s[0:1], 1.0, s4, 1.0
	v_div_scale_f32 v9, vcc, v2, v4, v2
	s_mov_b32 s2, 0x3f317217
	v_rcp_f32_e32 v10, v6
	v_fma_f32 v11, -v6, v10, 1.0
	v_fmac_f32_e32 v10, v11, v10
	v_rcp_f32_e32 v12, v7
	v_mul_f32_e32 v11, v8, v10
	v_fma_f32 v13, -v6, v11, v8
	v_fmac_f32_e32 v11, v13, v10
	v_fma_f32 v13, -v7, v12, 1.0
	v_fmac_f32_e32 v12, v13, v12
	v_fma_f32 v6, -v6, v11, v8
	v_mul_f32_e32 v8, v9, v12
	v_fma_f32 v13, -v7, v8, v9
	v_fmac_f32_e32 v8, v13, v12
	v_fma_f32 v7, -v7, v8, v9
	v_div_fmas_f32 v7, v7, v12, v8
	s_mov_b64 vcc, s[0:1]
	v_div_fmas_f32 v6, v6, v10, v11
	s_mov_b32 s0, 0x800000
	v_mov_b32_e32 v8, 0x41b17218
	v_div_fixup_f32 v2, v7, v4, v2 clamp
	v_sub_f32_e32 v2, 1.0, v2
	v_div_fixup_f32 v4, v6, s4, 1.0
	v_cmp_gt_f32_e32 vcc, s0, v4
	s_and_b64 s[0:1], vcc, exec
	s_cselect_b32 s0, 32, 0
	v_ldexp_f32 v4, v4, s0
	v_log_f32_e32 v4, v4
	v_mul_f32_e32 v6, s5, v2
	v_fma_f32 v2, -s5, v2, 1.0
	v_mul_f32_e32 v3, v2, v3
	v_mul_f32_e32 v2, 0x3f317217, v4
	v_fma_f32 v2, v4, s2, -v2
	v_fmac_f32_e32 v2, 0x3377d1cf, v4
	v_cndmask_b32_e32 v7, 0, v8, vcc
	v_fmac_f32_e32 v2, 0x3f317217, v4
	v_cmp_lt_f32_e64 vcc, |v4|, s13
	v_cndmask_b32_e32 v2, v4, v2, vcc
	v_sub_f32_e32 v2, v2, v7
	s_mov_b32 s0, 0x3dcccccd
	v_fma_f32 v2, v2, s0, 1.0
	v_fmac_f32_e32 v3, v6, v5
	v_mul_f32_e32 v4, s6, v2
	s_branch .LBB3_10
.LBB3_9:
	v_mov_b32_e32 v4, s6
.LBB3_10:
	v_and_b32_e32 v5, 0x7fffffff, v3
	s_brev_b32 s0, 18
	v_cmp_nlt_f32_e64 s[6:7], |v3|, s0
	v_lshrrev_b32_e32 v2, 23, v5
                                        ; implicit-def: $vgpr7
                                        ; implicit-def: $vgpr6
	s_and_saveexec_b64 s[0:1], s[6:7]
	s_xor_b64 s[12:13], exec, s[0:1]
	s_cbranch_execz .LBB3_12
; %bb.11:
	v_and_b32_e32 v6, 0x7fffff, v5
	v_or_b32_e32 v15, 0x800000, v6
	s_mov_b32 s0, 0xfe5163ab
	v_mad_u64_u32 v[6:7], s[0:1], v15, s0, 0
	v_mov_b32_e32 v8, 0
	s_mov_b32 s0, 0x3c439041
	v_mad_u64_u32 v[9:10], s[0:1], v15, s0, v[7:8]
	s_mov_b32 s0, 0xdb629599
	v_add_u32_e32 v14, 0xffffff88, v2
	v_mov_b32_e32 v7, v10
	v_mad_u64_u32 v[10:11], s[0:1], v15, s0, v[7:8]
	s_mov_b32 s0, 0xf534ddc0
	v_not_b32_e32 v16, 63
	v_mov_b32_e32 v7, v11
	v_mad_u64_u32 v[11:12], s[0:1], v15, s0, v[7:8]
	s_mov_b32 s0, 0xfc2757d1
	v_cmp_lt_u32_e32 vcc, 63, v14
	v_mov_b32_e32 v7, v12
	v_mad_u64_u32 v[12:13], s[0:1], v15, s0, v[7:8]
	v_cndmask_b32_e32 v7, 0, v16, vcc
	v_add_u32_e32 v16, v7, v14
	v_mov_b32_e32 v7, v13
	s_mov_b32 s0, 0x4e441529
	v_mad_u64_u32 v[13:14], s[0:1], v15, s0, v[7:8]
	v_not_b32_e32 v17, 31
	v_cmp_lt_u32_e64 s[0:1], 31, v16
	v_cndmask_b32_e64 v7, 0, v17, s[0:1]
	v_add_u32_e32 v16, v7, v16
	v_mov_b32_e32 v7, v14
	s_mov_b32 s2, 0xa2f9836e
	v_mad_u64_u32 v[7:8], s[2:3], v15, s2, v[7:8]
	v_cmp_lt_u32_e64 s[2:3], 31, v16
	v_cndmask_b32_e64 v14, 0, v17, s[2:3]
	v_cndmask_b32_e32 v15, v13, v11, vcc
	v_cndmask_b32_e32 v7, v7, v12, vcc
	;; [unrolled: 1-line block ×3, first 2 shown]
	v_add_u32_e32 v14, v14, v16
	v_cndmask_b32_e64 v16, v7, v15, s[0:1]
	v_cndmask_b32_e64 v7, v8, v7, s[0:1]
	v_cndmask_b32_e32 v8, v12, v10, vcc
	v_cndmask_b32_e64 v12, v15, v8, s[0:1]
	v_cndmask_b32_e32 v9, v11, v9, vcc
	v_cndmask_b32_e64 v7, v7, v16, s[2:3]
	v_cndmask_b32_e64 v13, v16, v12, s[2:3]
	v_sub_u32_e32 v15, 32, v14
	v_cndmask_b32_e64 v8, v8, v9, s[0:1]
	v_alignbit_b32 v16, v7, v13, v15
	v_cmp_eq_u32_e64 s[4:5], 0, v14
	v_cndmask_b32_e64 v11, v12, v8, s[2:3]
	v_cndmask_b32_e64 v7, v16, v7, s[4:5]
	v_alignbit_b32 v12, v13, v11, v15
	v_cndmask_b32_e32 v6, v10, v6, vcc
	v_cndmask_b32_e64 v12, v12, v13, s[4:5]
	v_bfe_u32 v16, v7, 29, 1
	v_cndmask_b32_e64 v6, v9, v6, s[0:1]
	v_alignbit_b32 v13, v7, v12, 30
	v_sub_u32_e32 v17, 0, v16
	v_cndmask_b32_e64 v6, v8, v6, s[2:3]
	v_xor_b32_e32 v13, v13, v17
	v_alignbit_b32 v8, v11, v6, v15
	v_cndmask_b32_e64 v8, v8, v11, s[4:5]
	v_ffbh_u32_e32 v10, v13
	v_alignbit_b32 v9, v12, v8, 30
	v_min_u32_e32 v10, 32, v10
	v_alignbit_b32 v6, v8, v6, 30
	v_xor_b32_e32 v9, v9, v17
	v_sub_u32_e32 v11, 31, v10
	v_xor_b32_e32 v6, v6, v17
	v_alignbit_b32 v12, v13, v9, v11
	v_alignbit_b32 v6, v9, v6, v11
	;; [unrolled: 1-line block ×3, first 2 shown]
	v_ffbh_u32_e32 v9, v8
	v_min_u32_e32 v9, 32, v9
	v_lshrrev_b32_e32 v14, 29, v7
	v_not_b32_e32 v11, v9
	v_alignbit_b32 v6, v8, v6, v11
	v_lshlrev_b32_e32 v8, 31, v14
	v_or_b32_e32 v11, 0x33000000, v8
	v_add_lshl_u32 v9, v9, v10, 23
	v_lshrrev_b32_e32 v6, 9, v6
	v_sub_u32_e32 v9, v11, v9
	v_or_b32_e32 v8, 0.5, v8
	v_lshlrev_b32_e32 v10, 23, v10
	v_or_b32_e32 v6, v9, v6
	v_lshrrev_b32_e32 v9, 9, v12
	v_sub_u32_e32 v8, v8, v10
	v_or_b32_e32 v8, v9, v8
	s_mov_b32 s0, 0x3fc90fda
	v_mul_f32_e32 v9, 0x3fc90fda, v8
	v_fma_f32 v10, v8, s0, -v9
	v_fmac_f32_e32 v10, 0x33a22168, v8
	v_fmac_f32_e32 v10, 0x3fc90fda, v6
	v_lshrrev_b32_e32 v7, 30, v7
	v_add_f32_e32 v6, v9, v10
	v_add_u32_e32 v7, v16, v7
	s_andn2_saveexec_b64 s[0:1], s[12:13]
	s_cbranch_execz .LBB3_14
	s_branch .LBB3_13
.LBB3_12:
	s_andn2_saveexec_b64 s[0:1], s[12:13]
	s_cbranch_execz .LBB3_14
.LBB3_13:
	s_mov_b32 s2, 0x3f22f983
	v_mul_f32_e64 v6, |v3|, s2
	v_rndne_f32_e32 v8, v6
	s_mov_b32 s2, 0xbfc90fda
	v_cvt_i32_f32_e32 v7, v8
	v_fma_f32 v6, v8, s2, |v3|
	v_fmac_f32_e32 v6, 0xb3a22168, v8
	v_fmac_f32_e32 v6, 0xa7c234c4, v8
.LBB3_14:
	s_or_b64 exec, exec, s[0:1]
                                        ; implicit-def: $vgpr9
                                        ; implicit-def: $vgpr8
	s_and_saveexec_b64 s[0:1], s[6:7]
	s_xor_b64 s[6:7], exec, s[0:1]
	s_cbranch_execz .LBB3_16
; %bb.15:
	v_and_b32_e32 v8, 0x7fffff, v5
	v_or_b32_e32 v17, 0x800000, v8
	s_mov_b32 s0, 0xfe5163ab
	v_mad_u64_u32 v[8:9], s[0:1], v17, s0, 0
	v_mov_b32_e32 v10, 0
	s_mov_b32 s0, 0x3c439041
	v_mad_u64_u32 v[11:12], s[0:1], v17, s0, v[9:10]
	s_mov_b32 s0, 0xdb629599
	v_add_u32_e32 v2, 0xffffff88, v2
	v_mov_b32_e32 v9, v12
	v_mad_u64_u32 v[12:13], s[0:1], v17, s0, v[9:10]
	s_mov_b32 s0, 0xf534ddc0
	v_not_b32_e32 v16, 63
	v_mov_b32_e32 v9, v13
	v_mad_u64_u32 v[13:14], s[0:1], v17, s0, v[9:10]
	s_mov_b32 s0, 0xfc2757d1
	v_cmp_lt_u32_e32 vcc, 63, v2
	v_mov_b32_e32 v9, v14
	v_mad_u64_u32 v[14:15], s[0:1], v17, s0, v[9:10]
	v_cndmask_b32_e32 v9, 0, v16, vcc
	v_add_u32_e32 v2, v9, v2
	v_mov_b32_e32 v9, v15
	s_mov_b32 s0, 0x4e441529
	v_mad_u64_u32 v[15:16], s[0:1], v17, s0, v[9:10]
	v_not_b32_e32 v18, 31
	v_cmp_lt_u32_e64 s[0:1], 31, v2
	v_cndmask_b32_e64 v9, 0, v18, s[0:1]
	v_add_u32_e32 v2, v9, v2
	v_mov_b32_e32 v9, v16
	s_mov_b32 s2, 0xa2f9836e
	v_mad_u64_u32 v[9:10], s[2:3], v17, s2, v[9:10]
	v_cmp_lt_u32_e64 s[2:3], 31, v2
	v_cndmask_b32_e64 v16, 0, v18, s[2:3]
	v_add_u32_e32 v2, v16, v2
	v_cndmask_b32_e32 v16, v15, v13, vcc
	v_cndmask_b32_e32 v9, v9, v14, vcc
	;; [unrolled: 1-line block ×3, first 2 shown]
	v_cndmask_b32_e64 v17, v9, v16, s[0:1]
	v_cndmask_b32_e64 v9, v10, v9, s[0:1]
	v_cndmask_b32_e32 v10, v14, v12, vcc
	v_cndmask_b32_e64 v14, v16, v10, s[0:1]
	v_cndmask_b32_e64 v9, v9, v17, s[2:3]
	;; [unrolled: 1-line block ×3, first 2 shown]
	v_sub_u32_e32 v16, 32, v2
	v_alignbit_b32 v17, v9, v15, v16
	v_cmp_eq_u32_e64 s[4:5], 0, v2
	v_cndmask_b32_e64 v2, v17, v9, s[4:5]
	v_cndmask_b32_e32 v9, v13, v11, vcc
	v_cndmask_b32_e64 v10, v10, v9, s[0:1]
	v_cndmask_b32_e64 v11, v14, v10, s[2:3]
	v_alignbit_b32 v13, v15, v11, v16
	v_cndmask_b32_e32 v8, v12, v8, vcc
	v_cndmask_b32_e64 v13, v13, v15, s[4:5]
	v_bfe_u32 v17, v2, 29, 1
	v_cndmask_b32_e64 v8, v9, v8, s[0:1]
	v_alignbit_b32 v14, v2, v13, 30
	v_sub_u32_e32 v18, 0, v17
	v_cndmask_b32_e64 v8, v10, v8, s[2:3]
	v_xor_b32_e32 v14, v14, v18
	v_alignbit_b32 v9, v11, v8, v16
	v_cndmask_b32_e64 v9, v9, v11, s[4:5]
	v_ffbh_u32_e32 v11, v14
	v_alignbit_b32 v10, v13, v9, 30
	v_min_u32_e32 v11, 32, v11
	v_alignbit_b32 v8, v9, v8, 30
	v_xor_b32_e32 v10, v10, v18
	v_sub_u32_e32 v12, 31, v11
	v_xor_b32_e32 v8, v8, v18
	v_alignbit_b32 v13, v14, v10, v12
	v_alignbit_b32 v8, v10, v8, v12
	;; [unrolled: 1-line block ×3, first 2 shown]
	v_ffbh_u32_e32 v10, v9
	v_min_u32_e32 v10, 32, v10
	v_lshrrev_b32_e32 v15, 29, v2
	v_not_b32_e32 v12, v10
	v_alignbit_b32 v8, v9, v8, v12
	v_lshlrev_b32_e32 v9, 31, v15
	v_or_b32_e32 v12, 0x33000000, v9
	v_add_lshl_u32 v10, v10, v11, 23
	v_lshrrev_b32_e32 v8, 9, v8
	v_sub_u32_e32 v10, v12, v10
	v_or_b32_e32 v9, 0.5, v9
	v_lshlrev_b32_e32 v11, 23, v11
	v_or_b32_e32 v8, v10, v8
	v_lshrrev_b32_e32 v10, 9, v13
	v_sub_u32_e32 v9, v9, v11
	v_or_b32_e32 v9, v10, v9
	s_mov_b32 s0, 0x3fc90fda
	v_mul_f32_e32 v10, 0x3fc90fda, v9
	v_fma_f32 v11, v9, s0, -v10
	v_fmac_f32_e32 v11, 0x33a22168, v9
	v_fmac_f32_e32 v11, 0x3fc90fda, v8
	v_lshrrev_b32_e32 v2, 30, v2
	v_add_f32_e32 v8, v10, v11
	v_add_u32_e32 v9, v17, v2
	s_andn2_saveexec_b64 s[0:1], s[6:7]
	s_cbranch_execnz .LBB3_17
	s_branch .LBB3_18
.LBB3_16:
	s_andn2_saveexec_b64 s[0:1], s[6:7]
	s_cbranch_execz .LBB3_18
.LBB3_17:
	s_mov_b32 s2, 0x3f22f983
	v_mul_f32_e64 v2, |v3|, s2
	v_rndne_f32_e32 v2, v2
	s_mov_b32 s2, 0xbfc90fda
	v_cvt_i32_f32_e32 v9, v2
	v_fma_f32 v8, v2, s2, |v3|
	v_fmac_f32_e32 v8, 0xb3a22168, v2
	v_fmac_f32_e32 v8, 0xa7c234c4, v2
.LBB3_18:
	s_or_b64 exec, exec, s[0:1]
	v_ashrrev_i32_e32 v2, 31, v1
	s_lshr_b32 s0, s17, 31
	v_lshlrev_b64 v[1:2], 2, v[1:2]
	s_add_i32 s0, s17, s0
	s_ashr_i32 s0, s0, 1
	v_mov_b32_e32 v10, s9
	v_add_co_u32_e32 v1, vcc, s8, v1
	s_ashr_i32 s1, s0, 31
	v_addc_co_u32_e32 v2, vcc, v10, v2, vcc
	s_lshl_b64 s[2:3], s[0:1], 2
	v_mov_b32_e32 v11, s3
	v_add_co_u32_e32 v10, vcc, s2, v1
	v_addc_co_u32_e32 v11, vcc, v2, v11, vcc
	global_load_dword v12, v[1:2], off
	global_load_dword v13, v[10:11], off
	v_ashrrev_i32_e32 v1, 31, v0
	v_lshlrev_b64 v[0:1], 1, v[0:1]
	v_mul_f32_e32 v2, v6, v6
	v_mov_b32_e32 v11, 0x3c0881c4
	v_mov_b32_e32 v16, 0xbab64f3b
	;; [unrolled: 1-line block ×3, first 2 shown]
	v_add_co_u32_e32 v0, vcc, s10, v0
	v_mov_b32_e32 v10, 0x3c0881c4
	v_mov_b32_e32 v14, 0xbe2aaa9d
	;; [unrolled: 1-line block ×3, first 2 shown]
	v_addc_co_u32_e32 v1, vcc, v17, v1, vcc
	v_mov_b32_e32 v17, 0x3d2aabf7
	v_mul_f32_e32 v19, v8, v8
	v_fmac_f32_e32 v11, 0xb94c1982, v2
	v_fmac_f32_e32 v16, 0x37d75334, v2
	v_mov_b32_e32 v18, 0xbf000004
	v_fmac_f32_e32 v10, 0xb94c1982, v19
	v_fma_f32 v11, v2, v11, v14
	v_fmac_f32_e32 v15, 0x37d75334, v19
	v_fma_f32 v16, v2, v16, v17
	v_fmac_f32_e32 v14, v19, v10
	v_and_b32_e32 v10, 1, v7
	v_fmac_f32_e32 v17, v19, v15
	v_mul_f32_e32 v11, v2, v11
	v_fma_f32 v16, v2, v16, v18
	v_lshlrev_b32_e32 v15, 30, v9
	v_and_b32_e32 v9, 1, v9
	v_mul_f32_e32 v14, v19, v14
	v_fmac_f32_e32 v18, v19, v17
	v_fmac_f32_e32 v6, v6, v11
	v_fma_f32 v2, v2, v16, 1.0
	v_cmp_eq_u32_e32 vcc, 0, v10
	v_lshlrev_b32_e32 v7, 30, v7
	v_xor_b32_e32 v5, v5, v3
	v_and_b32_e32 v15, 0x80000000, v15
	v_fmac_f32_e32 v8, v8, v14
	v_fma_f32 v11, v19, v18, 1.0
	v_cndmask_b32_e64 v2, -v6, v2, vcc
	v_cmp_eq_u32_e32 vcc, 0, v9
	v_xor_b32_e32 v5, v5, v15
	v_and_b32_e32 v7, 0x80000000, v7
	s_lshl_b64 s[0:1], s[0:1], 1
	v_cndmask_b32_e32 v6, v11, v8, vcc
	v_mov_b32_e32 v8, s1
	v_xor_b32_e32 v2, v7, v2
	v_xor_b32_e32 v7, v5, v6
	v_add_co_u32_e32 v5, vcc, s0, v0
	s_movk_i32 s2, 0x1f8
	v_addc_co_u32_e32 v6, vcc, v1, v8, vcc
	v_mov_b32_e32 v15, 0x7fc00000
	v_cmp_class_f32_e64 vcc, v3, s2
	v_cndmask_b32_e32 v3, v15, v7, vcc
	v_cndmask_b32_e32 v2, v15, v2, vcc
	v_mul_f32_e32 v3, v4, v3
	v_mul_f32_e32 v2, v4, v2
	s_waitcnt vmcnt(1)
	v_mul_f32_e32 v4, v12, v3
	s_waitcnt vmcnt(0)
	v_mul_f32_e32 v3, v13, v3
	v_fma_mixlo_f16 v4, v2, v13, v4
	v_fma_mixlo_f16 v2, v2, v12, -v3
	global_store_short v[0:1], v2, off
	global_store_short v[5:6], v4, off
.LBB3_19:
	s_endpgm
	.section	.rodata,"a",@progbits
	.p2align	6, 0x0
	.amdhsa_kernel _ZL9rope_neoxILb1ELb1Ef6__halfEvPKT1_PT2_iiiiiiiiiiPKifff14rope_corr_dimsfPKfPKli
		.amdhsa_group_segment_fixed_size 0
		.amdhsa_private_segment_fixed_size 0
		.amdhsa_kernarg_size 368
		.amdhsa_user_sgpr_count 6
		.amdhsa_user_sgpr_private_segment_buffer 1
		.amdhsa_user_sgpr_dispatch_ptr 0
		.amdhsa_user_sgpr_queue_ptr 0
		.amdhsa_user_sgpr_kernarg_segment_ptr 1
		.amdhsa_user_sgpr_dispatch_id 0
		.amdhsa_user_sgpr_flat_scratch_init 0
		.amdhsa_user_sgpr_private_segment_size 0
		.amdhsa_uses_dynamic_stack 0
		.amdhsa_system_sgpr_private_segment_wavefront_offset 0
		.amdhsa_system_sgpr_workgroup_id_x 1
		.amdhsa_system_sgpr_workgroup_id_y 1
		.amdhsa_system_sgpr_workgroup_id_z 0
		.amdhsa_system_sgpr_workgroup_info 0
		.amdhsa_system_vgpr_workitem_id 1
		.amdhsa_next_free_vgpr 20
		.amdhsa_next_free_sgpr 18
		.amdhsa_reserve_vcc 1
		.amdhsa_reserve_flat_scratch 0
		.amdhsa_float_round_mode_32 0
		.amdhsa_float_round_mode_16_64 0
		.amdhsa_float_denorm_mode_32 3
		.amdhsa_float_denorm_mode_16_64 3
		.amdhsa_dx10_clamp 1
		.amdhsa_ieee_mode 1
		.amdhsa_fp16_overflow 0
		.amdhsa_exception_fp_ieee_invalid_op 0
		.amdhsa_exception_fp_denorm_src 0
		.amdhsa_exception_fp_ieee_div_zero 0
		.amdhsa_exception_fp_ieee_overflow 0
		.amdhsa_exception_fp_ieee_underflow 0
		.amdhsa_exception_fp_ieee_inexact 0
		.amdhsa_exception_int_div_zero 0
	.end_amdhsa_kernel
	.section	.text._ZL9rope_neoxILb1ELb1Ef6__halfEvPKT1_PT2_iiiiiiiiiiPKifff14rope_corr_dimsfPKfPKli,"axG",@progbits,_ZL9rope_neoxILb1ELb1Ef6__halfEvPKT1_PT2_iiiiiiiiiiPKifff14rope_corr_dimsfPKfPKli,comdat
.Lfunc_end3:
	.size	_ZL9rope_neoxILb1ELb1Ef6__halfEvPKT1_PT2_iiiiiiiiiiPKifff14rope_corr_dimsfPKfPKli, .Lfunc_end3-_ZL9rope_neoxILb1ELb1Ef6__halfEvPKT1_PT2_iiiiiiiiiiPKifff14rope_corr_dimsfPKfPKli
                                        ; -- End function
	.set _ZL9rope_neoxILb1ELb1Ef6__halfEvPKT1_PT2_iiiiiiiiiiPKifff14rope_corr_dimsfPKfPKli.num_vgpr, 20
	.set _ZL9rope_neoxILb1ELb1Ef6__halfEvPKT1_PT2_iiiiiiiiiiPKifff14rope_corr_dimsfPKfPKli.num_agpr, 0
	.set _ZL9rope_neoxILb1ELb1Ef6__halfEvPKT1_PT2_iiiiiiiiiiPKifff14rope_corr_dimsfPKfPKli.numbered_sgpr, 18
	.set _ZL9rope_neoxILb1ELb1Ef6__halfEvPKT1_PT2_iiiiiiiiiiPKifff14rope_corr_dimsfPKfPKli.num_named_barrier, 0
	.set _ZL9rope_neoxILb1ELb1Ef6__halfEvPKT1_PT2_iiiiiiiiiiPKifff14rope_corr_dimsfPKfPKli.private_seg_size, 0
	.set _ZL9rope_neoxILb1ELb1Ef6__halfEvPKT1_PT2_iiiiiiiiiiPKifff14rope_corr_dimsfPKfPKli.uses_vcc, 1
	.set _ZL9rope_neoxILb1ELb1Ef6__halfEvPKT1_PT2_iiiiiiiiiiPKifff14rope_corr_dimsfPKfPKli.uses_flat_scratch, 0
	.set _ZL9rope_neoxILb1ELb1Ef6__halfEvPKT1_PT2_iiiiiiiiiiPKifff14rope_corr_dimsfPKfPKli.has_dyn_sized_stack, 0
	.set _ZL9rope_neoxILb1ELb1Ef6__halfEvPKT1_PT2_iiiiiiiiiiPKifff14rope_corr_dimsfPKfPKli.has_recursion, 0
	.set _ZL9rope_neoxILb1ELb1Ef6__halfEvPKT1_PT2_iiiiiiiiiiPKifff14rope_corr_dimsfPKfPKli.has_indirect_call, 0
	.section	.AMDGPU.csdata,"",@progbits
; Kernel info:
; codeLenInByte = 3912
; TotalNumSgprs: 22
; NumVgprs: 20
; ScratchSize: 0
; MemoryBound: 0
; FloatMode: 240
; IeeeMode: 1
; LDSByteSize: 0 bytes/workgroup (compile time only)
; SGPRBlocks: 2
; VGPRBlocks: 4
; NumSGPRsForWavesPerEU: 22
; NumVGPRsForWavesPerEU: 20
; Occupancy: 10
; WaveLimiterHint : 0
; COMPUTE_PGM_RSRC2:SCRATCH_EN: 0
; COMPUTE_PGM_RSRC2:USER_SGPR: 6
; COMPUTE_PGM_RSRC2:TRAP_HANDLER: 0
; COMPUTE_PGM_RSRC2:TGID_X_EN: 1
; COMPUTE_PGM_RSRC2:TGID_Y_EN: 1
; COMPUTE_PGM_RSRC2:TGID_Z_EN: 0
; COMPUTE_PGM_RSRC2:TIDIG_COMP_CNT: 1
	.section	.text._ZL9rope_neoxILb1ELb0E6__halfS0_EvPKT1_PT2_iiiiiiiiiiPKifff14rope_corr_dimsfPKfPKli,"axG",@progbits,_ZL9rope_neoxILb1ELb0E6__halfS0_EvPKT1_PT2_iiiiiiiiiiPKifff14rope_corr_dimsfPKfPKli,comdat
	.globl	_ZL9rope_neoxILb1ELb0E6__halfS0_EvPKT1_PT2_iiiiiiiiiiPKifff14rope_corr_dimsfPKfPKli ; -- Begin function _ZL9rope_neoxILb1ELb0E6__halfS0_EvPKT1_PT2_iiiiiiiiiiPKifff14rope_corr_dimsfPKfPKli
	.p2align	8
	.type	_ZL9rope_neoxILb1ELb0E6__halfS0_EvPKT1_PT2_iiiiiiiiiiPKifff14rope_corr_dimsfPKfPKli,@function
_ZL9rope_neoxILb1ELb0E6__halfS0_EvPKT1_PT2_iiiiiiiiiiPKifff14rope_corr_dimsfPKfPKli: ; @_ZL9rope_neoxILb1ELb0E6__halfS0_EvPKT1_PT2_iiiiiiiiiiPKifff14rope_corr_dimsfPKfPKli
; %bb.0:
	s_load_dword s2, s[4:5], 0x7c
	s_load_dwordx8 s[8:15], s[4:5], 0x10
	s_add_u32 s0, s4, 0x70
	s_addc_u32 s1, s5, 0
	s_waitcnt lgkmcnt(0)
	s_lshr_b32 s2, s2, 16
	s_mul_i32 s7, s7, s2
	v_add_lshl_u32 v5, s7, v1, 1
	v_cmp_gt_i32_e32 vcc, s8, v5
	s_and_saveexec_b64 s[2:3], vcc
	s_cbranch_execz .LBB4_19
; %bb.1:
	s_mul_i32 s2, s10, s9
	s_abs_i32 s3, s2
	v_cvt_f32_u32_e32 v1, s3
	s_load_dword s0, s[0:1], 0xc
	s_sub_i32 s1, 0, s3
	v_cvt_f32_u32_e32 v2, s9
	v_rcp_iflag_f32_e32 v1, v1
	s_waitcnt lgkmcnt(0)
	s_and_b32 s0, s0, 0xffff
	s_mul_i32 s6, s6, s0
	v_mul_f32_e32 v1, 0x4f7ffffe, v1
	v_cvt_u32_f32_e32 v1, v1
	v_add_u32_e32 v0, s6, v0
	v_sub_u32_e32 v4, 0, v0
	v_max_i32_e32 v4, v0, v4
	v_mul_lo_u32 v3, s1, v1
	v_rcp_iflag_f32_e32 v2, v2
	s_sub_i32 s0, 0, s9
	v_xor_b32_e32 v6, s2, v0
	v_mul_hi_u32 v3, v1, v3
	v_mul_f32_e32 v2, 0x4f7ffffe, v2
	v_cvt_u32_f32_e32 v2, v2
	v_ashrrev_i32_e32 v6, 31, v6
	v_add_u32_e32 v1, v1, v3
	v_mul_hi_u32 v1, v4, v1
	v_mul_lo_u32 v3, s0, v2
	s_load_dword s0, s[4:5], 0x68
	s_load_dwordx2 s[6:7], s[4:5], 0x30
	v_mul_lo_u32 v7, v1, s3
	v_add_u32_e32 v8, 1, v1
	v_mul_hi_u32 v3, v2, v3
	s_waitcnt lgkmcnt(0)
	s_cmp_eq_u32 s0, 0
	v_sub_u32_e32 v4, v4, v7
	v_cmp_le_u32_e32 vcc, s3, v4
	v_subrev_u32_e32 v7, s3, v4
	v_cndmask_b32_e32 v1, v1, v8, vcc
	v_cndmask_b32_e32 v4, v4, v7, vcc
	v_add_u32_e32 v7, 1, v1
	v_cmp_le_u32_e32 vcc, s3, v4
	v_cndmask_b32_e32 v1, v1, v7, vcc
	v_xor_b32_e32 v1, v1, v6
	v_sub_u32_e32 v6, v1, v6
	v_mul_lo_u32 v1, s2, v6
	v_add_u32_e32 v2, v2, v3
	v_sub_u32_e32 v7, v0, v1
	v_mul_hi_u32 v0, v7, v2
	v_mul_lo_u32 v1, v0, s9
	v_add_u32_e32 v2, 1, v0
	v_sub_u32_e32 v1, v7, v1
	v_cmp_le_u32_e32 vcc, s9, v1
	v_cndmask_b32_e32 v0, v0, v2, vcc
	v_subrev_u32_e32 v2, s9, v1
	v_cndmask_b32_e32 v1, v1, v2, vcc
	v_add_u32_e32 v2, 1, v0
	v_cmp_le_u32_e32 vcc, s9, v1
	v_cndmask_b32_e32 v3, v0, v2, vcc
	s_cbranch_scc1 .LBB4_3
; %bb.2:
	s_load_dwordx2 s[2:3], s[4:5], 0x60
	v_mov_b32_e32 v4, 0
	v_lshlrev_b64 v[0:1], 3, v[3:4]
	s_waitcnt lgkmcnt(0)
	v_mov_b32_e32 v2, s3
	v_add_co_u32_e32 v0, vcc, s2, v0
	v_addc_co_u32_e32 v1, vcc, v2, v1, vcc
	global_load_dword v0, v[0:1], off
	s_waitcnt vmcnt(0)
	v_mul_lo_u32 v0, s0, v0
	s_branch .LBB4_4
.LBB4_3:
	v_mul_lo_u32 v0, v6, s6
	v_mad_u64_u32 v[0:1], s[0:1], v3, s15, v[0:1]
.LBB4_4:
	v_mul_lo_u32 v1, v3, s9
	v_ashrrev_i32_e32 v2, 1, v5
	v_mul_lo_u32 v4, v3, s12
	v_cmp_le_i32_e32 vcc, s7, v5
	v_sub_u32_e32 v1, v7, v1
	v_mad_u64_u32 v[6:7], s[0:1], v6, s13, v[2:3]
	v_mul_lo_u32 v8, v1, s11
	v_mul_lo_u32 v7, v1, s14
	s_load_dwordx4 s[8:11], s[4:5], 0x0
	v_add3_u32 v1, v6, v4, v8
	v_add3_u32 v0, v7, v2, v0
	s_and_saveexec_b64 s[0:1], vcc
	s_xor_b64 s[0:1], exec, s[0:1]
	s_cbranch_execz .LBB4_6
; %bb.5:
	v_add_u32_e32 v3, v1, v2
	v_ashrrev_i32_e32 v4, 31, v3
	v_lshlrev_b64 v[3:4], 1, v[3:4]
	s_waitcnt lgkmcnt(0)
	v_mov_b32_e32 v1, s9
	v_add_co_u32_e32 v3, vcc, s8, v3
	v_addc_co_u32_e32 v4, vcc, v1, v4, vcc
	global_load_ushort v5, v[3:4], off
	v_add_u32_e32 v0, v0, v2
	v_ashrrev_i32_e32 v1, 31, v0
	v_lshlrev_b64 v[0:1], 1, v[0:1]
	v_mov_b32_e32 v2, s11
	v_add_co_u32_e32 v0, vcc, s10, v0
	v_addc_co_u32_e32 v1, vcc, v2, v1, vcc
	s_waitcnt vmcnt(0)
	global_store_short v[0:1], v5, off
	global_load_ushort v2, v[3:4], off offset:2
                                        ; implicit-def: $vgpr3
                                        ; implicit-def: $vgpr5
	s_waitcnt vmcnt(0)
	global_store_short v[0:1], v2, off offset:2
                                        ; implicit-def: $vgpr1
                                        ; implicit-def: $vgpr0
                                        ; implicit-def: $vgpr2
.LBB4_6:
	s_andn2_saveexec_b64 s[0:1], s[0:1]
	s_cbranch_execz .LBB4_19
; %bb.7:
	s_load_dwordx2 s[0:1], s[4:5], 0x38
	v_mov_b32_e32 v4, 0
	v_lshlrev_b64 v[3:4], 2, v[3:4]
	v_mov_b32_e32 v9, 0x3ecccdef
	s_brev_b32 s6, -2
	s_waitcnt lgkmcnt(0)
	v_mov_b32_e32 v6, s1
	v_add_co_u32_e32 v3, vcc, s0, v3
	v_addc_co_u32_e32 v4, vcc, v6, v4, vcc
	global_load_dword v6, v[3:4], off
	s_load_dwordx4 s[12:15], s[4:5], 0x40
	s_load_dwordx2 s[16:17], s[4:5], 0x50
	v_cvt_f32_i32_e32 v3, v5
	s_mov_b32 s0, 0x3f2aaaab
	v_mov_b32_e32 v5, 0x3e91f4c4
	s_mov_b32 s1, 0x3f317218
	v_mul_f32_e32 v3, 0.5, v3
	s_waitcnt lgkmcnt(0)
	v_cmp_neq_f32_e64 vcc, s17, 1.0
	v_cndmask_b32_e32 v4, 1.0, v3, vcc
	v_mov_b32_e32 v3, s17
	v_cmp_neq_f32_e32 vcc, 0, v4
	v_cndmask_b32_e32 v3, 1.0, v3, vcc
	v_frexp_mant_f32_e64 v10, |v3|
	v_cmp_gt_f32_e32 vcc, s0, v10
	v_cndmask_b32_e64 v11, 1.0, 2.0, vcc
	v_mul_f32_e32 v10, v10, v11
	v_add_f32_e32 v12, 1.0, v10
	v_cvt_f64_f32_e64 v[7:8], |v3|
	v_rcp_f32_e32 v13, v12
	v_add_f32_e32 v11, -1.0, v10
	v_add_f32_e32 v14, -1.0, v12
	v_frexp_exp_i32_f64_e32 v7, v[7:8]
	v_sub_f32_e32 v8, v10, v14
	v_mul_f32_e32 v10, v11, v13
	v_mul_f32_e32 v14, v12, v10
	v_fma_f32 v12, v10, v12, -v14
	v_fmac_f32_e32 v12, v10, v8
	v_add_f32_e32 v8, v14, v12
	v_sub_f32_e32 v15, v11, v8
	v_sub_f32_e32 v14, v8, v14
	;; [unrolled: 1-line block ×5, first 2 shown]
	v_add_f32_e32 v8, v12, v8
	v_add_f32_e32 v8, v15, v8
	v_mul_f32_e32 v8, v13, v8
	v_add_f32_e32 v12, v10, v8
	v_sub_f32_e32 v10, v12, v10
	v_mul_f32_e32 v13, v12, v12
	v_sub_f32_e32 v8, v8, v10
	v_fma_f32 v10, v12, v12, -v13
	v_add_f32_e32 v14, v8, v8
	v_fmac_f32_e32 v10, v12, v14
	v_add_f32_e32 v14, v13, v10
	v_fmac_f32_e32 v5, 0x3e76c4e1, v14
	v_sub_f32_e32 v13, v14, v13
	v_mul_f32_e32 v15, v12, v14
	v_fmac_f32_e32 v9, v14, v5
	v_sub_f32_e32 v5, v10, v13
	v_fma_f32 v10, v14, v12, -v15
	v_fmac_f32_e32 v10, v14, v8
	v_mul_f32_e32 v13, v14, v9
	v_fmac_f32_e32 v10, v5, v12
	v_fma_f32 v14, v14, v9, -v13
	v_add_f32_e32 v16, v15, v10
	v_fmac_f32_e32 v14, v5, v9
	v_sub_f32_e32 v5, v16, v15
	v_add_f32_e32 v9, v13, v14
	v_sub_f32_e32 v5, v10, v5
	v_add_f32_e32 v10, 0x3f2aaaaa, v9
	v_sub_f32_e32 v13, v9, v13
	v_sub_f32_e32 v13, v14, v13
	v_add_f32_e32 v14, 0xbf2aaaaa, v10
	v_subbrev_co_u32_e32 v7, vcc, 0, v7, vcc
	v_add_f32_e32 v13, 0x31739010, v13
	v_sub_f32_e32 v9, v9, v14
	v_cvt_f32_i32_e32 v7, v7
	v_add_f32_e32 v9, v13, v9
	v_add_f32_e32 v13, v10, v9
	v_sub_f32_e32 v10, v10, v13
	v_mul_f32_e32 v14, v16, v13
	v_add_f32_e32 v9, v9, v10
	v_fma_f32 v10, v16, v13, -v14
	v_mul_f32_e32 v11, 0x3f317218, v7
	v_fmac_f32_e32 v10, v16, v9
	v_fmac_f32_e32 v10, v5, v13
	s_movk_i32 s5, 0x204
	s_mov_b32 s0, 0x42b17218
	s_mov_b32 s4, 0x7f800000
	s_waitcnt vmcnt(0)
	v_cvt_f32_i32_e32 v5, v6
	v_fma_f32 v6, v7, s1, -v11
	v_fmac_f32_e32 v6, 0xb102e308, v7
	v_add_f32_e32 v9, v11, v6
	v_sub_f32_e32 v11, v9, v11
	v_sub_f32_e32 v6, v6, v11
	v_add_f32_e32 v11, v14, v10
	v_ldexp_f32 v7, v8, 1
	v_ldexp_f32 v8, v12, 1
	v_sub_f32_e32 v12, v11, v14
	v_sub_f32_e32 v10, v10, v12
	v_add_f32_e32 v12, v8, v11
	v_sub_f32_e32 v8, v12, v8
	v_sub_f32_e32 v8, v11, v8
	v_add_f32_e32 v7, v7, v10
	v_add_f32_e32 v7, v7, v8
	;; [unrolled: 1-line block ×3, first 2 shown]
	v_sub_f32_e32 v10, v8, v12
	v_sub_f32_e32 v7, v7, v10
	v_add_f32_e32 v10, v9, v8
	v_sub_f32_e32 v11, v10, v9
	v_sub_f32_e32 v12, v10, v11
	;; [unrolled: 1-line block ×4, first 2 shown]
	v_add_f32_e32 v8, v8, v9
	v_add_f32_e32 v9, v6, v7
	v_sub_f32_e32 v11, v9, v6
	v_sub_f32_e32 v12, v9, v11
	;; [unrolled: 1-line block ×4, first 2 shown]
	v_add_f32_e32 v6, v7, v6
	v_add_f32_e32 v7, v9, v8
	;; [unrolled: 1-line block ×3, first 2 shown]
	v_sub_f32_e32 v9, v8, v10
	v_sub_f32_e32 v7, v7, v9
	v_add_f32_e32 v6, v6, v7
	v_add_f32_e32 v7, v8, v6
	v_sub_f32_e32 v8, v7, v8
	v_sub_f32_e32 v6, v6, v8
	v_mul_f32_e32 v8, v4, v7
	v_fma_f32 v7, v4, v7, -v8
	v_fmac_f32_e32 v7, v4, v6
	v_add_f32_e32 v6, v8, v7
	v_cmp_class_f32_e64 vcc, v8, s5
	v_sub_f32_e32 v9, v6, v8
	v_cndmask_b32_e32 v6, v6, v8, vcc
	v_mov_b32_e32 v8, 0x37000000
	v_cmp_eq_f32_e32 vcc, s0, v6
	v_cndmask_b32_e32 v8, 0, v8, vcc
	v_sub_f32_e32 v7, v7, v9
	v_sub_f32_e32 v9, v6, v8
	s_mov_b32 s1, 0x3fb8aa3b
	v_mul_f32_e32 v10, 0x3fb8aa3b, v9
	v_fma_f32 v11, v9, s1, -v10
	v_rndne_f32_e32 v12, v10
	v_fmac_f32_e32 v11, 0x32a5705f, v9
	v_sub_f32_e32 v10, v10, v12
	v_add_f32_e32 v10, v10, v11
	v_exp_f32_e32 v10, v10
	v_cvt_i32_f32_e32 v11, v12
	v_cmp_neq_f32_e64 vcc, |v6|, s4
	s_mov_b32 s1, 0xc2ce8ed0
	v_cndmask_b32_e32 v6, 0, v7, vcc
	v_ldexp_f32 v7, v10, v11
	v_cmp_ngt_f32_e32 vcc, s1, v9
	v_add_f32_e32 v6, v8, v6
	v_cndmask_b32_e32 v7, 0, v7, vcc
	v_mov_b32_e32 v8, 0x7f800000
	v_cmp_nlt_f32_e32 vcc, s0, v9
	v_cndmask_b32_e32 v7, v8, v7, vcc
	v_fma_f32 v6, v7, v6, v7
	v_cmp_class_f32_e64 vcc, v7, s5
	v_cndmask_b32_e32 v6, v6, v7, vcc
	v_trunc_f32_e32 v7, v4
	v_cmp_eq_f32_e32 vcc, v7, v4
	v_mul_f32_e32 v7, 0.5, v4
	v_trunc_f32_e32 v10, v7
	v_cmp_neq_f32_e64 s[0:1], v10, v7
	s_and_b64 s[0:1], vcc, s[0:1]
	v_cndmask_b32_e64 v7, 1.0, v3, s[0:1]
	v_mov_b32_e32 v9, 0x7fc00000
	v_bfi_b32 v6, s6, v6, v7
	v_cmp_neq_f32_e64 s[2:3], v4, |v4|
	v_cmp_lt_f32_e64 s[18:19], |v3|, 1.0
	v_cndmask_b32_e32 v7, v9, v6, vcc
	v_cmp_gt_f32_e32 vcc, 0, v3
	s_xor_b64 s[2:3], s[2:3], s[18:19]
	v_cndmask_b32_e32 v6, v6, v7, vcc
	v_cndmask_b32_e64 v7, v8, 0, s[2:3]
	v_cmp_neq_f32_e64 vcc, |v3|, 1.0
	v_cndmask_b32_e32 v7, 1.0, v7, vcc
	v_cmp_class_f32_e64 vcc, v4, s5
	v_cndmask_b32_e32 v6, v6, v7, vcc
	v_cmp_eq_f32_e32 vcc, 0, v3
	v_cmp_gt_f32_e64 s[2:3], 0, v4
	s_xor_b64 s[2:3], s[2:3], vcc
	v_cmp_class_f32_e64 s[18:19], v3, s5
	v_cndmask_b32_e64 v4, v8, 0, s[2:3]
	v_cndmask_b32_e64 v7, 0, v3, s[0:1]
	v_bfi_b32 v4, s6, v4, v7
	s_or_b64 vcc, vcc, s[18:19]
	v_cndmask_b32_e32 v4, v6, v4, vcc
	v_cmp_o_f32_e32 vcc, v3, v3
	v_cndmask_b32_e32 v3, v9, v4, vcc
	v_mul_f32_e32 v5, v3, v5
	v_cmp_eq_f32_e64 s[0:1], s13, 0
	v_mul_f32_e32 v3, s12, v5
	s_and_b64 vcc, exec, s[0:1]
	s_cbranch_vccnz .LBB4_9
; %bb.8:
	v_cvt_f32_i32_e32 v2, v2
	v_div_scale_f32 v6, s[0:1], s12, s12, 1.0
	v_mov_b32_e32 v4, s15
	v_sub_f32_e32 v4, s16, v4
	v_subrev_f32_e32 v2, s15, v2
	v_max_f32_e32 v4, 0x3a83126f, v4
	v_div_scale_f32 v7, s[0:1], v4, v4, v2
	v_div_scale_f32 v8, s[0:1], 1.0, s12, 1.0
	v_div_scale_f32 v9, vcc, v2, v4, v2
	s_mov_b32 s2, 0x3f317217
	v_rcp_f32_e32 v10, v6
	v_fma_f32 v11, -v6, v10, 1.0
	v_fmac_f32_e32 v10, v11, v10
	v_rcp_f32_e32 v12, v7
	v_mul_f32_e32 v11, v8, v10
	v_fma_f32 v13, -v6, v11, v8
	v_fmac_f32_e32 v11, v13, v10
	v_fma_f32 v13, -v7, v12, 1.0
	v_fmac_f32_e32 v12, v13, v12
	v_fma_f32 v6, -v6, v11, v8
	v_mul_f32_e32 v8, v9, v12
	v_fma_f32 v13, -v7, v8, v9
	v_fmac_f32_e32 v8, v13, v12
	v_fma_f32 v7, -v7, v8, v9
	v_div_fmas_f32 v7, v7, v12, v8
	s_mov_b64 vcc, s[0:1]
	v_div_fmas_f32 v6, v6, v10, v11
	s_mov_b32 s0, 0x800000
	v_mov_b32_e32 v8, 0x41b17218
	v_div_fixup_f32 v2, v7, v4, v2 clamp
	v_sub_f32_e32 v2, 1.0, v2
	v_div_fixup_f32 v4, v6, s12, 1.0
	v_cmp_gt_f32_e32 vcc, s0, v4
	s_and_b64 s[0:1], vcc, exec
	s_cselect_b32 s0, 32, 0
	v_ldexp_f32 v4, v4, s0
	v_log_f32_e32 v4, v4
	v_mul_f32_e32 v6, s13, v2
	v_fma_f32 v2, -s13, v2, 1.0
	v_mul_f32_e32 v3, v2, v3
	v_mul_f32_e32 v2, 0x3f317217, v4
	v_fma_f32 v2, v4, s2, -v2
	v_fmac_f32_e32 v2, 0x3377d1cf, v4
	v_cndmask_b32_e32 v7, 0, v8, vcc
	v_fmac_f32_e32 v2, 0x3f317217, v4
	v_cmp_lt_f32_e64 vcc, |v4|, s4
	v_cndmask_b32_e32 v2, v4, v2, vcc
	v_sub_f32_e32 v2, v2, v7
	s_mov_b32 s0, 0x3dcccccd
	v_fma_f32 v2, v2, s0, 1.0
	v_fmac_f32_e32 v3, v6, v5
	v_mul_f32_e32 v4, s14, v2
	s_branch .LBB4_10
.LBB4_9:
	v_mov_b32_e32 v4, s14
.LBB4_10:
	v_and_b32_e32 v5, 0x7fffffff, v3
	s_brev_b32 s0, 18
	v_cmp_nlt_f32_e64 s[12:13], |v3|, s0
	v_lshrrev_b32_e32 v2, 23, v5
                                        ; implicit-def: $vgpr7
                                        ; implicit-def: $vgpr6
	s_and_saveexec_b64 s[0:1], s[12:13]
	s_xor_b64 s[14:15], exec, s[0:1]
	s_cbranch_execz .LBB4_12
; %bb.11:
	v_and_b32_e32 v6, 0x7fffff, v5
	v_or_b32_e32 v15, 0x800000, v6
	s_mov_b32 s0, 0xfe5163ab
	v_mad_u64_u32 v[6:7], s[0:1], v15, s0, 0
	v_mov_b32_e32 v8, 0
	s_mov_b32 s0, 0x3c439041
	v_mad_u64_u32 v[9:10], s[0:1], v15, s0, v[7:8]
	s_mov_b32 s0, 0xdb629599
	v_add_u32_e32 v14, 0xffffff88, v2
	v_mov_b32_e32 v7, v10
	v_mad_u64_u32 v[10:11], s[0:1], v15, s0, v[7:8]
	s_mov_b32 s0, 0xf534ddc0
	v_not_b32_e32 v16, 63
	v_mov_b32_e32 v7, v11
	v_mad_u64_u32 v[11:12], s[0:1], v15, s0, v[7:8]
	s_mov_b32 s0, 0xfc2757d1
	v_cmp_lt_u32_e32 vcc, 63, v14
	v_mov_b32_e32 v7, v12
	v_mad_u64_u32 v[12:13], s[0:1], v15, s0, v[7:8]
	v_cndmask_b32_e32 v7, 0, v16, vcc
	v_add_u32_e32 v16, v7, v14
	v_mov_b32_e32 v7, v13
	s_mov_b32 s0, 0x4e441529
	v_mad_u64_u32 v[13:14], s[0:1], v15, s0, v[7:8]
	v_not_b32_e32 v17, 31
	v_cmp_lt_u32_e64 s[0:1], 31, v16
	v_cndmask_b32_e64 v7, 0, v17, s[0:1]
	v_add_u32_e32 v16, v7, v16
	v_mov_b32_e32 v7, v14
	s_mov_b32 s2, 0xa2f9836e
	v_mad_u64_u32 v[7:8], s[2:3], v15, s2, v[7:8]
	v_cmp_lt_u32_e64 s[2:3], 31, v16
	v_cndmask_b32_e64 v14, 0, v17, s[2:3]
	v_cndmask_b32_e32 v15, v13, v11, vcc
	v_cndmask_b32_e32 v7, v7, v12, vcc
	;; [unrolled: 1-line block ×3, first 2 shown]
	v_add_u32_e32 v14, v14, v16
	v_cndmask_b32_e64 v16, v7, v15, s[0:1]
	v_cndmask_b32_e64 v7, v8, v7, s[0:1]
	v_cndmask_b32_e32 v8, v12, v10, vcc
	v_cndmask_b32_e64 v12, v15, v8, s[0:1]
	v_cndmask_b32_e32 v9, v11, v9, vcc
	v_cndmask_b32_e64 v7, v7, v16, s[2:3]
	v_cndmask_b32_e64 v13, v16, v12, s[2:3]
	v_sub_u32_e32 v15, 32, v14
	v_cndmask_b32_e64 v8, v8, v9, s[0:1]
	v_alignbit_b32 v16, v7, v13, v15
	v_cmp_eq_u32_e64 s[4:5], 0, v14
	v_cndmask_b32_e64 v11, v12, v8, s[2:3]
	v_cndmask_b32_e64 v7, v16, v7, s[4:5]
	v_alignbit_b32 v12, v13, v11, v15
	v_cndmask_b32_e32 v6, v10, v6, vcc
	v_cndmask_b32_e64 v12, v12, v13, s[4:5]
	v_bfe_u32 v16, v7, 29, 1
	v_cndmask_b32_e64 v6, v9, v6, s[0:1]
	v_alignbit_b32 v13, v7, v12, 30
	v_sub_u32_e32 v17, 0, v16
	v_cndmask_b32_e64 v6, v8, v6, s[2:3]
	v_xor_b32_e32 v13, v13, v17
	v_alignbit_b32 v8, v11, v6, v15
	v_cndmask_b32_e64 v8, v8, v11, s[4:5]
	v_ffbh_u32_e32 v10, v13
	v_alignbit_b32 v9, v12, v8, 30
	v_min_u32_e32 v10, 32, v10
	v_alignbit_b32 v6, v8, v6, 30
	v_xor_b32_e32 v9, v9, v17
	v_sub_u32_e32 v11, 31, v10
	v_xor_b32_e32 v6, v6, v17
	v_alignbit_b32 v12, v13, v9, v11
	v_alignbit_b32 v6, v9, v6, v11
	v_alignbit_b32 v8, v12, v6, 9
	v_ffbh_u32_e32 v9, v8
	v_min_u32_e32 v9, 32, v9
	v_lshrrev_b32_e32 v14, 29, v7
	v_not_b32_e32 v11, v9
	v_alignbit_b32 v6, v8, v6, v11
	v_lshlrev_b32_e32 v8, 31, v14
	v_or_b32_e32 v11, 0x33000000, v8
	v_add_lshl_u32 v9, v9, v10, 23
	v_lshrrev_b32_e32 v6, 9, v6
	v_sub_u32_e32 v9, v11, v9
	v_or_b32_e32 v8, 0.5, v8
	v_lshlrev_b32_e32 v10, 23, v10
	v_or_b32_e32 v6, v9, v6
	v_lshrrev_b32_e32 v9, 9, v12
	v_sub_u32_e32 v8, v8, v10
	v_or_b32_e32 v8, v9, v8
	s_mov_b32 s0, 0x3fc90fda
	v_mul_f32_e32 v9, 0x3fc90fda, v8
	v_fma_f32 v10, v8, s0, -v9
	v_fmac_f32_e32 v10, 0x33a22168, v8
	v_fmac_f32_e32 v10, 0x3fc90fda, v6
	v_lshrrev_b32_e32 v7, 30, v7
	v_add_f32_e32 v6, v9, v10
	v_add_u32_e32 v7, v16, v7
	s_andn2_saveexec_b64 s[0:1], s[14:15]
	s_cbranch_execz .LBB4_14
	s_branch .LBB4_13
.LBB4_12:
	s_andn2_saveexec_b64 s[0:1], s[14:15]
	s_cbranch_execz .LBB4_14
.LBB4_13:
	s_mov_b32 s2, 0x3f22f983
	v_mul_f32_e64 v6, |v3|, s2
	v_rndne_f32_e32 v8, v6
	s_mov_b32 s2, 0xbfc90fda
	v_cvt_i32_f32_e32 v7, v8
	v_fma_f32 v6, v8, s2, |v3|
	v_fmac_f32_e32 v6, 0xb3a22168, v8
	v_fmac_f32_e32 v6, 0xa7c234c4, v8
.LBB4_14:
	s_or_b64 exec, exec, s[0:1]
                                        ; implicit-def: $vgpr9
                                        ; implicit-def: $vgpr8
	s_and_saveexec_b64 s[0:1], s[12:13]
	s_xor_b64 s[12:13], exec, s[0:1]
	s_cbranch_execz .LBB4_16
; %bb.15:
	v_and_b32_e32 v8, 0x7fffff, v5
	v_or_b32_e32 v17, 0x800000, v8
	s_mov_b32 s0, 0xfe5163ab
	v_mad_u64_u32 v[8:9], s[0:1], v17, s0, 0
	v_mov_b32_e32 v10, 0
	s_mov_b32 s0, 0x3c439041
	v_mad_u64_u32 v[11:12], s[0:1], v17, s0, v[9:10]
	s_mov_b32 s0, 0xdb629599
	v_add_u32_e32 v2, 0xffffff88, v2
	v_mov_b32_e32 v9, v12
	v_mad_u64_u32 v[12:13], s[0:1], v17, s0, v[9:10]
	s_mov_b32 s0, 0xf534ddc0
	v_not_b32_e32 v16, 63
	v_mov_b32_e32 v9, v13
	v_mad_u64_u32 v[13:14], s[0:1], v17, s0, v[9:10]
	s_mov_b32 s0, 0xfc2757d1
	v_cmp_lt_u32_e32 vcc, 63, v2
	v_mov_b32_e32 v9, v14
	v_mad_u64_u32 v[14:15], s[0:1], v17, s0, v[9:10]
	v_cndmask_b32_e32 v9, 0, v16, vcc
	v_add_u32_e32 v2, v9, v2
	v_mov_b32_e32 v9, v15
	s_mov_b32 s0, 0x4e441529
	v_mad_u64_u32 v[15:16], s[0:1], v17, s0, v[9:10]
	v_not_b32_e32 v18, 31
	v_cmp_lt_u32_e64 s[0:1], 31, v2
	v_cndmask_b32_e64 v9, 0, v18, s[0:1]
	v_add_u32_e32 v2, v9, v2
	v_mov_b32_e32 v9, v16
	s_mov_b32 s2, 0xa2f9836e
	v_mad_u64_u32 v[9:10], s[2:3], v17, s2, v[9:10]
	v_cmp_lt_u32_e64 s[2:3], 31, v2
	v_cndmask_b32_e64 v16, 0, v18, s[2:3]
	v_add_u32_e32 v2, v16, v2
	v_cndmask_b32_e32 v16, v15, v13, vcc
	v_cndmask_b32_e32 v9, v9, v14, vcc
	;; [unrolled: 1-line block ×3, first 2 shown]
	v_cndmask_b32_e64 v17, v9, v16, s[0:1]
	v_cndmask_b32_e64 v9, v10, v9, s[0:1]
	v_cndmask_b32_e32 v10, v14, v12, vcc
	v_cndmask_b32_e64 v14, v16, v10, s[0:1]
	v_cndmask_b32_e64 v9, v9, v17, s[2:3]
	;; [unrolled: 1-line block ×3, first 2 shown]
	v_sub_u32_e32 v16, 32, v2
	v_alignbit_b32 v17, v9, v15, v16
	v_cmp_eq_u32_e64 s[4:5], 0, v2
	v_cndmask_b32_e64 v2, v17, v9, s[4:5]
	v_cndmask_b32_e32 v9, v13, v11, vcc
	v_cndmask_b32_e64 v10, v10, v9, s[0:1]
	v_cndmask_b32_e64 v11, v14, v10, s[2:3]
	v_alignbit_b32 v13, v15, v11, v16
	v_cndmask_b32_e32 v8, v12, v8, vcc
	v_cndmask_b32_e64 v13, v13, v15, s[4:5]
	v_bfe_u32 v17, v2, 29, 1
	v_cndmask_b32_e64 v8, v9, v8, s[0:1]
	v_alignbit_b32 v14, v2, v13, 30
	v_sub_u32_e32 v18, 0, v17
	v_cndmask_b32_e64 v8, v10, v8, s[2:3]
	v_xor_b32_e32 v14, v14, v18
	v_alignbit_b32 v9, v11, v8, v16
	v_cndmask_b32_e64 v9, v9, v11, s[4:5]
	v_ffbh_u32_e32 v11, v14
	v_alignbit_b32 v10, v13, v9, 30
	v_min_u32_e32 v11, 32, v11
	v_alignbit_b32 v8, v9, v8, 30
	v_xor_b32_e32 v10, v10, v18
	v_sub_u32_e32 v12, 31, v11
	v_xor_b32_e32 v8, v8, v18
	v_alignbit_b32 v13, v14, v10, v12
	v_alignbit_b32 v8, v10, v8, v12
	;; [unrolled: 1-line block ×3, first 2 shown]
	v_ffbh_u32_e32 v10, v9
	v_min_u32_e32 v10, 32, v10
	v_lshrrev_b32_e32 v15, 29, v2
	v_not_b32_e32 v12, v10
	v_alignbit_b32 v8, v9, v8, v12
	v_lshlrev_b32_e32 v9, 31, v15
	v_or_b32_e32 v12, 0x33000000, v9
	v_add_lshl_u32 v10, v10, v11, 23
	v_lshrrev_b32_e32 v8, 9, v8
	v_sub_u32_e32 v10, v12, v10
	v_or_b32_e32 v9, 0.5, v9
	v_lshlrev_b32_e32 v11, 23, v11
	v_or_b32_e32 v8, v10, v8
	v_lshrrev_b32_e32 v10, 9, v13
	v_sub_u32_e32 v9, v9, v11
	v_or_b32_e32 v9, v10, v9
	s_mov_b32 s0, 0x3fc90fda
	v_mul_f32_e32 v10, 0x3fc90fda, v9
	v_fma_f32 v11, v9, s0, -v10
	v_fmac_f32_e32 v11, 0x33a22168, v9
	v_fmac_f32_e32 v11, 0x3fc90fda, v8
	v_lshrrev_b32_e32 v2, 30, v2
	v_add_f32_e32 v8, v10, v11
	v_add_u32_e32 v9, v17, v2
	s_andn2_saveexec_b64 s[0:1], s[12:13]
	s_cbranch_execnz .LBB4_17
	s_branch .LBB4_18
.LBB4_16:
	s_andn2_saveexec_b64 s[0:1], s[12:13]
	s_cbranch_execz .LBB4_18
.LBB4_17:
	s_mov_b32 s2, 0x3f22f983
	v_mul_f32_e64 v2, |v3|, s2
	v_rndne_f32_e32 v2, v2
	s_mov_b32 s2, 0xbfc90fda
	v_cvt_i32_f32_e32 v9, v2
	v_fma_f32 v8, v2, s2, |v3|
	v_fmac_f32_e32 v8, 0xb3a22168, v2
	v_fmac_f32_e32 v8, 0xa7c234c4, v2
.LBB4_18:
	s_or_b64 exec, exec, s[0:1]
	v_ashrrev_i32_e32 v2, 31, v1
	s_lshr_b32 s0, s7, 31
	v_lshlrev_b64 v[1:2], 1, v[1:2]
	s_add_i32 s0, s7, s0
	s_ashr_i32 s0, s0, 1
	v_mov_b32_e32 v10, s9
	v_add_co_u32_e32 v1, vcc, s8, v1
	s_ashr_i32 s1, s0, 31
	v_addc_co_u32_e32 v2, vcc, v10, v2, vcc
	s_lshl_b64 s[0:1], s[0:1], 1
	global_load_ushort v10, v[1:2], off
	v_mov_b32_e32 v11, s1
	v_add_co_u32_e32 v1, vcc, s0, v1
	v_addc_co_u32_e32 v2, vcc, v2, v11, vcc
	global_load_ushort v2, v[1:2], off
	v_ashrrev_i32_e32 v1, 31, v0
	v_lshlrev_b64 v[0:1], 1, v[0:1]
	v_mov_b32_e32 v17, s11
	v_add_co_u32_e32 v0, vcc, s10, v0
	v_mul_f32_e32 v12, v6, v6
	v_mov_b32_e32 v16, 0xbab64f3b
	v_addc_co_u32_e32 v1, vcc, v17, v1, vcc
	v_mov_b32_e32 v17, 0xbab64f3b
	v_mul_f32_e32 v19, v8, v8
	v_mov_b32_e32 v13, 0x3c0881c4
	v_mov_b32_e32 v14, 0x3c0881c4
	;; [unrolled: 1-line block ×3, first 2 shown]
	v_fmac_f32_e32 v17, 0x37d75334, v12
	v_fmac_f32_e32 v16, 0x37d75334, v19
	v_mov_b32_e32 v15, 0xbe2aaa9d
	v_fmac_f32_e32 v14, 0xb94c1982, v12
	v_fmac_f32_e32 v13, 0xb94c1982, v19
	v_fma_f32 v17, v12, v17, v18
	v_fmac_f32_e32 v18, v19, v16
	v_lshlrev_b32_e32 v16, 30, v9
	v_fma_f32 v14, v12, v14, v15
	v_fmac_f32_e32 v15, v19, v13
	v_mov_b32_e32 v13, 0xbf000004
	v_xor_b32_e32 v5, v5, v3
	v_and_b32_e32 v16, 0x80000000, v16
	v_xor_b32_e32 v5, v5, v16
	v_and_b32_e32 v16, 1, v7
	v_fma_f32 v17, v12, v17, v13
	v_mul_f32_e32 v14, v12, v14
	v_fmac_f32_e32 v13, v19, v18
	v_and_b32_e32 v9, 1, v9
	v_mul_f32_e32 v15, v19, v15
	v_fmac_f32_e32 v6, v6, v14
	v_fma_f32 v12, v12, v17, 1.0
	v_cmp_eq_u32_e32 vcc, 0, v16
	v_fmac_f32_e32 v8, v8, v15
	v_fma_f32 v13, v19, v13, 1.0
	v_cndmask_b32_e64 v6, -v6, v12, vcc
	v_cmp_eq_u32_e32 vcc, 0, v9
	v_lshlrev_b32_e32 v7, 30, v7
	v_cndmask_b32_e32 v8, v13, v8, vcc
	v_and_b32_e32 v7, 0x80000000, v7
	v_xor_b32_e32 v8, v5, v8
	v_add_co_u32_e32 v5, vcc, s0, v0
	s_movk_i32 s1, 0x1f8
	v_xor_b32_e32 v7, v7, v6
	v_addc_co_u32_e32 v6, vcc, v1, v11, vcc
	v_mov_b32_e32 v18, 0x7fc00000
	v_cmp_class_f32_e64 vcc, v3, s1
	v_cndmask_b32_e32 v3, v18, v7, vcc
	v_cndmask_b32_e32 v7, v18, v8, vcc
	v_mul_f32_e32 v3, v4, v3
	v_mul_f32_e32 v4, v4, v7
	s_waitcnt vmcnt(1)
	v_cvt_f32_f16_e32 v8, v10
	v_mul_f32_e32 v7, v4, v8
	s_waitcnt vmcnt(0)
	v_cvt_f32_f16_e32 v9, v2
	v_fma_mixlo_f16 v2, v3, v2, v7 op_sel_hi:[0,1,0]
	v_mul_f32_e32 v4, v4, v9
	v_fma_mixlo_f16 v3, v3, v10, -v4 op_sel_hi:[0,1,0]
	global_store_short v[0:1], v3, off
	global_store_short v[5:6], v2, off
.LBB4_19:
	s_endpgm
	.section	.rodata,"a",@progbits
	.p2align	6, 0x0
	.amdhsa_kernel _ZL9rope_neoxILb1ELb0E6__halfS0_EvPKT1_PT2_iiiiiiiiiiPKifff14rope_corr_dimsfPKfPKli
		.amdhsa_group_segment_fixed_size 0
		.amdhsa_private_segment_fixed_size 0
		.amdhsa_kernarg_size 368
		.amdhsa_user_sgpr_count 6
		.amdhsa_user_sgpr_private_segment_buffer 1
		.amdhsa_user_sgpr_dispatch_ptr 0
		.amdhsa_user_sgpr_queue_ptr 0
		.amdhsa_user_sgpr_kernarg_segment_ptr 1
		.amdhsa_user_sgpr_dispatch_id 0
		.amdhsa_user_sgpr_flat_scratch_init 0
		.amdhsa_user_sgpr_private_segment_size 0
		.amdhsa_uses_dynamic_stack 0
		.amdhsa_system_sgpr_private_segment_wavefront_offset 0
		.amdhsa_system_sgpr_workgroup_id_x 1
		.amdhsa_system_sgpr_workgroup_id_y 1
		.amdhsa_system_sgpr_workgroup_id_z 0
		.amdhsa_system_sgpr_workgroup_info 0
		.amdhsa_system_vgpr_workitem_id 1
		.amdhsa_next_free_vgpr 20
		.amdhsa_next_free_sgpr 20
		.amdhsa_reserve_vcc 1
		.amdhsa_reserve_flat_scratch 0
		.amdhsa_float_round_mode_32 0
		.amdhsa_float_round_mode_16_64 0
		.amdhsa_float_denorm_mode_32 3
		.amdhsa_float_denorm_mode_16_64 3
		.amdhsa_dx10_clamp 1
		.amdhsa_ieee_mode 1
		.amdhsa_fp16_overflow 0
		.amdhsa_exception_fp_ieee_invalid_op 0
		.amdhsa_exception_fp_denorm_src 0
		.amdhsa_exception_fp_ieee_div_zero 0
		.amdhsa_exception_fp_ieee_overflow 0
		.amdhsa_exception_fp_ieee_underflow 0
		.amdhsa_exception_fp_ieee_inexact 0
		.amdhsa_exception_int_div_zero 0
	.end_amdhsa_kernel
	.section	.text._ZL9rope_neoxILb1ELb0E6__halfS0_EvPKT1_PT2_iiiiiiiiiiPKifff14rope_corr_dimsfPKfPKli,"axG",@progbits,_ZL9rope_neoxILb1ELb0E6__halfS0_EvPKT1_PT2_iiiiiiiiiiPKifff14rope_corr_dimsfPKfPKli,comdat
.Lfunc_end4:
	.size	_ZL9rope_neoxILb1ELb0E6__halfS0_EvPKT1_PT2_iiiiiiiiiiPKifff14rope_corr_dimsfPKfPKli, .Lfunc_end4-_ZL9rope_neoxILb1ELb0E6__halfS0_EvPKT1_PT2_iiiiiiiiiiPKifff14rope_corr_dimsfPKfPKli
                                        ; -- End function
	.set _ZL9rope_neoxILb1ELb0E6__halfS0_EvPKT1_PT2_iiiiiiiiiiPKifff14rope_corr_dimsfPKfPKli.num_vgpr, 20
	.set _ZL9rope_neoxILb1ELb0E6__halfS0_EvPKT1_PT2_iiiiiiiiiiPKifff14rope_corr_dimsfPKfPKli.num_agpr, 0
	.set _ZL9rope_neoxILb1ELb0E6__halfS0_EvPKT1_PT2_iiiiiiiiiiPKifff14rope_corr_dimsfPKfPKli.numbered_sgpr, 20
	.set _ZL9rope_neoxILb1ELb0E6__halfS0_EvPKT1_PT2_iiiiiiiiiiPKifff14rope_corr_dimsfPKfPKli.num_named_barrier, 0
	.set _ZL9rope_neoxILb1ELb0E6__halfS0_EvPKT1_PT2_iiiiiiiiiiPKifff14rope_corr_dimsfPKfPKli.private_seg_size, 0
	.set _ZL9rope_neoxILb1ELb0E6__halfS0_EvPKT1_PT2_iiiiiiiiiiPKifff14rope_corr_dimsfPKfPKli.uses_vcc, 1
	.set _ZL9rope_neoxILb1ELb0E6__halfS0_EvPKT1_PT2_iiiiiiiiiiPKifff14rope_corr_dimsfPKfPKli.uses_flat_scratch, 0
	.set _ZL9rope_neoxILb1ELb0E6__halfS0_EvPKT1_PT2_iiiiiiiiiiPKifff14rope_corr_dimsfPKfPKli.has_dyn_sized_stack, 0
	.set _ZL9rope_neoxILb1ELb0E6__halfS0_EvPKT1_PT2_iiiiiiiiiiPKifff14rope_corr_dimsfPKfPKli.has_recursion, 0
	.set _ZL9rope_neoxILb1ELb0E6__halfS0_EvPKT1_PT2_iiiiiiiiiiPKifff14rope_corr_dimsfPKfPKli.has_indirect_call, 0
	.section	.AMDGPU.csdata,"",@progbits
; Kernel info:
; codeLenInByte = 3792
; TotalNumSgprs: 24
; NumVgprs: 20
; ScratchSize: 0
; MemoryBound: 0
; FloatMode: 240
; IeeeMode: 1
; LDSByteSize: 0 bytes/workgroup (compile time only)
; SGPRBlocks: 2
; VGPRBlocks: 4
; NumSGPRsForWavesPerEU: 24
; NumVGPRsForWavesPerEU: 20
; Occupancy: 10
; WaveLimiterHint : 0
; COMPUTE_PGM_RSRC2:SCRATCH_EN: 0
; COMPUTE_PGM_RSRC2:USER_SGPR: 6
; COMPUTE_PGM_RSRC2:TRAP_HANDLER: 0
; COMPUTE_PGM_RSRC2:TGID_X_EN: 1
; COMPUTE_PGM_RSRC2:TGID_Y_EN: 1
; COMPUTE_PGM_RSRC2:TGID_Z_EN: 0
; COMPUTE_PGM_RSRC2:TIDIG_COMP_CNT: 1
	.section	.text._ZL9rope_neoxILb1ELb1E6__halfS0_EvPKT1_PT2_iiiiiiiiiiPKifff14rope_corr_dimsfPKfPKli,"axG",@progbits,_ZL9rope_neoxILb1ELb1E6__halfS0_EvPKT1_PT2_iiiiiiiiiiPKifff14rope_corr_dimsfPKfPKli,comdat
	.globl	_ZL9rope_neoxILb1ELb1E6__halfS0_EvPKT1_PT2_iiiiiiiiiiPKifff14rope_corr_dimsfPKfPKli ; -- Begin function _ZL9rope_neoxILb1ELb1E6__halfS0_EvPKT1_PT2_iiiiiiiiiiPKifff14rope_corr_dimsfPKfPKli
	.p2align	8
	.type	_ZL9rope_neoxILb1ELb1E6__halfS0_EvPKT1_PT2_iiiiiiiiiiPKifff14rope_corr_dimsfPKfPKli,@function
_ZL9rope_neoxILb1ELb1E6__halfS0_EvPKT1_PT2_iiiiiiiiiiPKifff14rope_corr_dimsfPKfPKli: ; @_ZL9rope_neoxILb1ELb1E6__halfS0_EvPKT1_PT2_iiiiiiiiiiPKifff14rope_corr_dimsfPKfPKli
; %bb.0:
	s_load_dword s2, s[4:5], 0x7c
	s_load_dwordx8 s[8:15], s[4:5], 0x10
	s_add_u32 s0, s4, 0x70
	s_addc_u32 s1, s5, 0
	s_waitcnt lgkmcnt(0)
	s_lshr_b32 s2, s2, 16
	s_mul_i32 s7, s7, s2
	v_add_lshl_u32 v5, s7, v1, 1
	v_cmp_gt_i32_e32 vcc, s8, v5
	s_and_saveexec_b64 s[2:3], vcc
	s_cbranch_execz .LBB5_19
; %bb.1:
	s_mul_i32 s2, s10, s9
	s_abs_i32 s3, s2
	v_cvt_f32_u32_e32 v1, s3
	s_load_dword s0, s[0:1], 0xc
	s_sub_i32 s1, 0, s3
	v_cvt_f32_u32_e32 v2, s9
	v_rcp_iflag_f32_e32 v1, v1
	s_waitcnt lgkmcnt(0)
	s_and_b32 s0, s0, 0xffff
	s_mul_i32 s6, s6, s0
	v_mul_f32_e32 v1, 0x4f7ffffe, v1
	v_cvt_u32_f32_e32 v1, v1
	v_add_u32_e32 v0, s6, v0
	v_sub_u32_e32 v4, 0, v0
	v_max_i32_e32 v4, v0, v4
	v_mul_lo_u32 v3, s1, v1
	v_rcp_iflag_f32_e32 v2, v2
	s_sub_i32 s0, 0, s9
	v_xor_b32_e32 v6, s2, v0
	v_mul_hi_u32 v3, v1, v3
	v_mul_f32_e32 v2, 0x4f7ffffe, v2
	v_cvt_u32_f32_e32 v2, v2
	v_ashrrev_i32_e32 v6, 31, v6
	v_add_u32_e32 v1, v1, v3
	v_mul_hi_u32 v1, v4, v1
	v_mul_lo_u32 v3, s0, v2
	s_load_dword s6, s[4:5], 0x68
	v_mul_lo_u32 v7, v1, s3
	v_add_u32_e32 v8, 1, v1
	v_mul_hi_u32 v3, v2, v3
	s_waitcnt lgkmcnt(0)
	s_cmp_eq_u32 s6, 0
	v_sub_u32_e32 v4, v4, v7
	v_cmp_le_u32_e32 vcc, s3, v4
	v_subrev_u32_e32 v7, s3, v4
	v_cndmask_b32_e32 v1, v1, v8, vcc
	v_cndmask_b32_e32 v4, v4, v7, vcc
	v_add_u32_e32 v7, 1, v1
	v_cmp_le_u32_e32 vcc, s3, v4
	v_cndmask_b32_e32 v1, v1, v7, vcc
	v_xor_b32_e32 v1, v1, v6
	v_sub_u32_e32 v6, v1, v6
	v_mul_lo_u32 v1, s2, v6
	v_add_u32_e32 v2, v2, v3
	s_load_dwordx2 s[16:17], s[4:5], 0x30
	s_load_dwordx4 s[0:3], s[4:5], 0x58
	v_sub_u32_e32 v7, v0, v1
	v_mul_hi_u32 v0, v7, v2
	v_mul_lo_u32 v1, v0, s9
	v_add_u32_e32 v2, 1, v0
	v_sub_u32_e32 v1, v7, v1
	v_cmp_le_u32_e32 vcc, s9, v1
	v_cndmask_b32_e32 v0, v0, v2, vcc
	v_subrev_u32_e32 v2, s9, v1
	v_cndmask_b32_e32 v1, v1, v2, vcc
	v_add_u32_e32 v2, 1, v0
	v_cmp_le_u32_e32 vcc, s9, v1
	v_cndmask_b32_e32 v3, v0, v2, vcc
	s_cbranch_scc1 .LBB5_3
; %bb.2:
	v_mov_b32_e32 v4, 0
	v_lshlrev_b64 v[0:1], 3, v[3:4]
	s_waitcnt lgkmcnt(0)
	v_mov_b32_e32 v2, s3
	v_add_co_u32_e32 v0, vcc, s2, v0
	v_addc_co_u32_e32 v1, vcc, v2, v1, vcc
	global_load_dword v0, v[0:1], off
	s_waitcnt vmcnt(0)
	v_mul_lo_u32 v0, s6, v0
	s_branch .LBB5_4
.LBB5_3:
	s_waitcnt lgkmcnt(0)
	v_mul_lo_u32 v0, v6, s16
	v_mad_u64_u32 v[0:1], s[2:3], v3, s15, v[0:1]
.LBB5_4:
	v_mul_lo_u32 v1, v3, s9
	v_ashrrev_i32_e32 v2, 1, v5
	v_mul_lo_u32 v4, v3, s12
	v_cmp_le_i32_e32 vcc, s17, v5
	v_sub_u32_e32 v1, v7, v1
	v_mad_u64_u32 v[6:7], s[2:3], v6, s13, v[2:3]
	v_mul_lo_u32 v8, v1, s11
	v_mul_lo_u32 v7, v1, s14
	s_load_dwordx4 s[8:11], s[4:5], 0x0
	v_add3_u32 v1, v6, v4, v8
	v_add3_u32 v0, v7, v2, v0
	s_and_saveexec_b64 s[2:3], vcc
	s_xor_b64 s[2:3], exec, s[2:3]
	s_cbranch_execz .LBB5_6
; %bb.5:
	v_add_u32_e32 v3, v1, v2
	v_ashrrev_i32_e32 v4, 31, v3
	v_lshlrev_b64 v[3:4], 1, v[3:4]
	s_waitcnt lgkmcnt(0)
	v_mov_b32_e32 v1, s9
	v_add_co_u32_e32 v3, vcc, s8, v3
	v_addc_co_u32_e32 v4, vcc, v1, v4, vcc
	global_load_ushort v5, v[3:4], off
	v_add_u32_e32 v0, v0, v2
	v_ashrrev_i32_e32 v1, 31, v0
	v_lshlrev_b64 v[0:1], 1, v[0:1]
	v_mov_b32_e32 v2, s11
	v_add_co_u32_e32 v0, vcc, s10, v0
	v_addc_co_u32_e32 v1, vcc, v2, v1, vcc
	s_waitcnt vmcnt(0)
	global_store_short v[0:1], v5, off
	global_load_ushort v2, v[3:4], off offset:2
                                        ; implicit-def: $vgpr3
                                        ; implicit-def: $vgpr5
	s_waitcnt vmcnt(0)
	global_store_short v[0:1], v2, off offset:2
                                        ; implicit-def: $vgpr1
                                        ; implicit-def: $vgpr0
                                        ; implicit-def: $vgpr2
.LBB5_6:
	s_andn2_saveexec_b64 s[2:3], s[2:3]
	s_cbranch_execz .LBB5_19
; %bb.7:
	s_load_dwordx2 s[2:3], s[4:5], 0x38
	s_load_dwordx2 s[12:13], s[4:5], 0x50
	v_mov_b32_e32 v4, 0
	v_lshlrev_b64 v[3:4], 2, v[3:4]
	v_mov_b32_e32 v8, 0x3e91f4c4
	s_waitcnt lgkmcnt(0)
	v_mov_b32_e32 v6, s3
	v_add_co_u32_e32 v3, vcc, s2, v3
	v_addc_co_u32_e32 v4, vcc, v6, v4, vcc
	global_load_dword v3, v[3:4], off
	v_cvt_f32_i32_e32 v4, v5
	v_cmp_neq_f32_e64 vcc, s13, 1.0
	s_mov_b32 s2, 0x3f2aaaab
	v_mov_b32_e32 v9, 0x3ecccdef
	v_mul_f32_e32 v4, 0.5, v4
	v_cndmask_b32_e32 v5, 1.0, v4, vcc
	v_mov_b32_e32 v4, s13
	v_cmp_neq_f32_e32 vcc, 0, v5
	v_cndmask_b32_e32 v4, 1.0, v4, vcc
	v_frexp_mant_f32_e64 v10, |v4|
	v_cmp_gt_f32_e32 vcc, s2, v10
	v_cvt_f64_f32_e64 v[6:7], |v4|
	v_cndmask_b32_e64 v11, 1.0, 2.0, vcc
	v_mul_f32_e32 v10, v10, v11
	v_add_f32_e32 v12, 1.0, v10
	v_rcp_f32_e32 v13, v12
	v_frexp_exp_i32_f64_e32 v6, v[6:7]
	v_add_f32_e32 v11, -1.0, v10
	v_add_f32_e32 v14, -1.0, v12
	v_sub_f32_e32 v7, v10, v14
	v_mul_f32_e32 v10, v11, v13
	v_mul_f32_e32 v14, v12, v10
	v_fma_f32 v12, v10, v12, -v14
	v_fmac_f32_e32 v12, v10, v7
	v_add_f32_e32 v7, v14, v12
	v_subbrev_co_u32_e32 v6, vcc, 0, v6, vcc
	v_sub_f32_e32 v15, v11, v7
	v_sub_f32_e32 v14, v7, v14
	v_cvt_f32_i32_e32 v16, v6
	v_sub_f32_e32 v6, v11, v15
	v_sub_f32_e32 v11, v14, v12
	;; [unrolled: 1-line block ×3, first 2 shown]
	v_add_f32_e32 v6, v11, v6
	v_add_f32_e32 v6, v15, v6
	v_mul_f32_e32 v6, v13, v6
	v_add_f32_e32 v12, v10, v6
	v_sub_f32_e32 v10, v12, v10
	v_mul_f32_e32 v13, v12, v12
	v_sub_f32_e32 v10, v6, v10
	v_fma_f32 v6, v12, v12, -v13
	v_add_f32_e32 v14, v10, v10
	v_fmac_f32_e32 v6, v12, v14
	v_add_f32_e32 v14, v13, v6
	v_fmac_f32_e32 v8, 0x3e76c4e1, v14
	v_mul_f32_e32 v15, v12, v14
	v_sub_f32_e32 v13, v14, v13
	v_fmac_f32_e32 v9, v14, v8
	v_fma_f32 v8, v14, v12, -v15
	v_sub_f32_e32 v6, v6, v13
	v_fmac_f32_e32 v8, v14, v10
	v_mul_f32_e32 v13, v14, v9
	v_fmac_f32_e32 v8, v6, v12
	v_fma_f32 v14, v14, v9, -v13
	v_add_f32_e32 v17, v15, v8
	v_fmac_f32_e32 v14, v6, v9
	v_sub_f32_e32 v6, v17, v15
	v_add_f32_e32 v9, v13, v14
	v_sub_f32_e32 v6, v8, v6
	v_add_f32_e32 v8, 0x3f2aaaaa, v9
	v_sub_f32_e32 v13, v9, v13
	v_sub_f32_e32 v13, v14, v13
	v_add_f32_e32 v14, 0xbf2aaaaa, v8
	v_add_f32_e32 v13, 0x31739010, v13
	v_sub_f32_e32 v9, v9, v14
	v_add_f32_e32 v9, v13, v9
	v_add_f32_e32 v13, v8, v9
	s_mov_b32 s3, 0x3f317218
	v_mul_f32_e32 v7, 0x3f317218, v16
	v_sub_f32_e32 v8, v8, v13
	v_mul_f32_e32 v14, v17, v13
	v_fma_f32 v11, v16, s3, -v7
	v_add_f32_e32 v8, v9, v8
	v_fma_f32 v9, v17, v13, -v14
	v_fmac_f32_e32 v9, v17, v8
	v_fmac_f32_e32 v11, 0xb102e308, v16
	;; [unrolled: 1-line block ×3, first 2 shown]
	v_ldexp_f32 v8, v12, 1
	s_movk_i32 s14, 0x204
	s_waitcnt vmcnt(0)
	v_cvt_f32_i32_e32 v6, v3
	v_ldexp_f32 v3, v10, 1
	v_add_f32_e32 v10, v7, v11
	v_sub_f32_e32 v7, v10, v7
	v_sub_f32_e32 v7, v11, v7
	v_add_f32_e32 v11, v14, v9
	v_sub_f32_e32 v12, v11, v14
	v_sub_f32_e32 v9, v9, v12
	;; [unrolled: 3-line block ×3, first 2 shown]
	v_add_f32_e32 v3, v3, v9
	v_add_f32_e32 v3, v3, v8
	;; [unrolled: 1-line block ×3, first 2 shown]
	v_sub_f32_e32 v9, v8, v12
	v_sub_f32_e32 v3, v3, v9
	v_add_f32_e32 v9, v10, v8
	v_sub_f32_e32 v11, v9, v10
	v_sub_f32_e32 v12, v9, v11
	;; [unrolled: 1-line block ×4, first 2 shown]
	v_add_f32_e32 v11, v7, v3
	v_add_f32_e32 v10, v8, v10
	v_sub_f32_e32 v8, v11, v7
	v_sub_f32_e32 v12, v11, v8
	;; [unrolled: 1-line block ×4, first 2 shown]
	v_add_f32_e32 v12, v3, v7
	v_ashrrev_i32_e32 v3, 31, v2
	v_lshlrev_b64 v[7:8], 2, v[2:3]
	v_mov_b32_e32 v3, s1
	v_add_co_u32_e32 v7, vcc, s0, v7
	v_addc_co_u32_e32 v8, vcc, v3, v8, vcc
	global_load_dword v3, v[7:8], off
	v_add_f32_e32 v7, v11, v10
	v_add_f32_e32 v8, v9, v7
	v_sub_f32_e32 v9, v8, v9
	v_sub_f32_e32 v7, v7, v9
	v_add_f32_e32 v7, v12, v7
	v_add_f32_e32 v9, v8, v7
	v_sub_f32_e32 v8, v9, v8
	v_sub_f32_e32 v7, v7, v8
	v_mul_f32_e32 v8, v5, v9
	v_fma_f32 v9, v5, v9, -v8
	v_fmac_f32_e32 v9, v5, v7
	v_add_f32_e32 v7, v8, v9
	v_cmp_class_f32_e64 vcc, v8, s14
	v_sub_f32_e32 v10, v7, v8
	v_cndmask_b32_e32 v7, v7, v8, vcc
	s_mov_b32 s0, 0x42b17218
	v_mov_b32_e32 v8, 0x37000000
	v_cmp_eq_f32_e32 vcc, s0, v7
	v_cndmask_b32_e32 v8, 0, v8, vcc
	v_sub_f32_e32 v9, v9, v10
	v_sub_f32_e32 v10, v7, v8
	s_mov_b32 s1, 0x3fb8aa3b
	v_mul_f32_e32 v11, 0x3fb8aa3b, v10
	v_fma_f32 v12, v10, s1, -v11
	v_rndne_f32_e32 v13, v11
	v_fmac_f32_e32 v12, 0x32a5705f, v10
	v_sub_f32_e32 v11, v11, v13
	v_add_f32_e32 v11, v11, v12
	v_exp_f32_e32 v11, v11
	v_cvt_i32_f32_e32 v12, v13
	s_mov_b32 s13, 0x7f800000
	v_cmp_neq_f32_e64 vcc, |v7|, s13
	v_cndmask_b32_e32 v7, 0, v9, vcc
	s_mov_b32 s1, 0xc2ce8ed0
	v_add_f32_e32 v7, v8, v7
	v_ldexp_f32 v8, v11, v12
	v_cmp_ngt_f32_e32 vcc, s1, v10
	v_cndmask_b32_e32 v8, 0, v8, vcc
	v_mov_b32_e32 v9, 0x7f800000
	v_cmp_nlt_f32_e32 vcc, s0, v10
	v_cndmask_b32_e32 v8, v9, v8, vcc
	v_fma_f32 v7, v8, v7, v8
	v_cmp_class_f32_e64 vcc, v8, s14
	v_cndmask_b32_e32 v7, v7, v8, vcc
	v_trunc_f32_e32 v8, v5
	v_cmp_eq_f32_e32 vcc, v8, v5
	v_mul_f32_e32 v8, 0.5, v5
	v_trunc_f32_e32 v11, v8
	v_cmp_neq_f32_e64 s[0:1], v11, v8
	s_and_b64 s[0:1], vcc, s[0:1]
	v_cndmask_b32_e64 v8, 1.0, v4, s[0:1]
	s_brev_b32 s15, -2
	v_mov_b32_e32 v10, 0x7fc00000
	v_bfi_b32 v7, s15, v7, v8
	v_cmp_neq_f32_e64 s[2:3], v5, |v5|
	v_cmp_lt_f32_e64 s[6:7], |v4|, 1.0
	v_cndmask_b32_e32 v8, v10, v7, vcc
	v_cmp_gt_f32_e32 vcc, 0, v4
	s_xor_b64 s[2:3], s[2:3], s[6:7]
	v_cndmask_b32_e32 v7, v7, v8, vcc
	v_cndmask_b32_e64 v8, v9, 0, s[2:3]
	v_cmp_neq_f32_e64 vcc, |v4|, 1.0
	v_cndmask_b32_e32 v8, 1.0, v8, vcc
	v_cmp_class_f32_e64 vcc, v5, s14
	v_cndmask_b32_e32 v7, v7, v8, vcc
	v_cmp_eq_f32_e32 vcc, 0, v4
	v_cmp_gt_f32_e64 s[2:3], 0, v5
	s_xor_b64 s[2:3], s[2:3], vcc
	v_cmp_class_f32_e64 s[6:7], v4, s14
	v_cndmask_b32_e64 v5, v9, 0, s[2:3]
	v_cndmask_b32_e64 v8, 0, v4, s[0:1]
	v_bfi_b32 v5, s15, v5, v8
	s_or_b64 vcc, vcc, s[6:7]
	v_cndmask_b32_e32 v5, v7, v5, vcc
	v_cmp_o_f32_e32 vcc, v4, v4
	v_cndmask_b32_e32 v4, v10, v5, vcc
	v_mul_f32_e32 v4, v4, v6
	s_load_dwordx4 s[4:7], s[4:5], 0x40
	s_waitcnt vmcnt(0)
	v_div_scale_f32 v5, s[0:1], v3, v3, v4
	v_div_scale_f32 v6, vcc, v4, v3, v4
	s_waitcnt lgkmcnt(0)
	v_cmp_eq_f32_e64 s[0:1], s5, 0
	v_rcp_f32_e32 v7, v5
	v_fma_f32 v8, -v5, v7, 1.0
	v_fmac_f32_e32 v7, v8, v7
	v_mul_f32_e32 v8, v6, v7
	v_fma_f32 v9, -v5, v8, v6
	v_fmac_f32_e32 v8, v9, v7
	v_fma_f32 v5, -v5, v8, v6
	v_div_fmas_f32 v5, v5, v7, v8
	s_and_b64 vcc, exec, s[0:1]
	v_div_fixup_f32 v5, v5, v3, v4
	v_mul_f32_e32 v3, s4, v5
	s_cbranch_vccnz .LBB5_9
; %bb.8:
	v_cvt_f32_i32_e32 v2, v2
	v_div_scale_f32 v6, s[0:1], s4, s4, 1.0
	v_mov_b32_e32 v4, s7
	v_sub_f32_e32 v4, s12, v4
	v_subrev_f32_e32 v2, s7, v2
	v_max_f32_e32 v4, 0x3a83126f, v4
	v_div_scale_f32 v7, s[0:1], v4, v4, v2
	v_div_scale_f32 v8, s[0:1], 1.0, s4, 1.0
	v_div_scale_f32 v9, vcc, v2, v4, v2
	s_mov_b32 s2, 0x3f317217
	v_rcp_f32_e32 v10, v6
	v_fma_f32 v11, -v6, v10, 1.0
	v_fmac_f32_e32 v10, v11, v10
	v_rcp_f32_e32 v12, v7
	v_mul_f32_e32 v11, v8, v10
	v_fma_f32 v13, -v6, v11, v8
	v_fmac_f32_e32 v11, v13, v10
	v_fma_f32 v13, -v7, v12, 1.0
	v_fmac_f32_e32 v12, v13, v12
	v_fma_f32 v6, -v6, v11, v8
	v_mul_f32_e32 v8, v9, v12
	v_fma_f32 v13, -v7, v8, v9
	v_fmac_f32_e32 v8, v13, v12
	v_fma_f32 v7, -v7, v8, v9
	v_div_fmas_f32 v7, v7, v12, v8
	s_mov_b64 vcc, s[0:1]
	v_div_fmas_f32 v6, v6, v10, v11
	s_mov_b32 s0, 0x800000
	v_mov_b32_e32 v8, 0x41b17218
	v_div_fixup_f32 v2, v7, v4, v2 clamp
	v_sub_f32_e32 v2, 1.0, v2
	v_div_fixup_f32 v4, v6, s4, 1.0
	v_cmp_gt_f32_e32 vcc, s0, v4
	s_and_b64 s[0:1], vcc, exec
	s_cselect_b32 s0, 32, 0
	v_ldexp_f32 v4, v4, s0
	v_log_f32_e32 v4, v4
	v_mul_f32_e32 v6, s5, v2
	v_fma_f32 v2, -s5, v2, 1.0
	v_mul_f32_e32 v3, v2, v3
	v_mul_f32_e32 v2, 0x3f317217, v4
	v_fma_f32 v2, v4, s2, -v2
	v_fmac_f32_e32 v2, 0x3377d1cf, v4
	v_cndmask_b32_e32 v7, 0, v8, vcc
	v_fmac_f32_e32 v2, 0x3f317217, v4
	v_cmp_lt_f32_e64 vcc, |v4|, s13
	v_cndmask_b32_e32 v2, v4, v2, vcc
	v_sub_f32_e32 v2, v2, v7
	s_mov_b32 s0, 0x3dcccccd
	v_fma_f32 v2, v2, s0, 1.0
	v_fmac_f32_e32 v3, v6, v5
	v_mul_f32_e32 v4, s6, v2
	s_branch .LBB5_10
.LBB5_9:
	v_mov_b32_e32 v4, s6
.LBB5_10:
	v_and_b32_e32 v5, 0x7fffffff, v3
	s_brev_b32 s0, 18
	v_cmp_nlt_f32_e64 s[6:7], |v3|, s0
	v_lshrrev_b32_e32 v2, 23, v5
                                        ; implicit-def: $vgpr7
                                        ; implicit-def: $vgpr6
	s_and_saveexec_b64 s[0:1], s[6:7]
	s_xor_b64 s[12:13], exec, s[0:1]
	s_cbranch_execz .LBB5_12
; %bb.11:
	v_and_b32_e32 v6, 0x7fffff, v5
	v_or_b32_e32 v15, 0x800000, v6
	s_mov_b32 s0, 0xfe5163ab
	v_mad_u64_u32 v[6:7], s[0:1], v15, s0, 0
	v_mov_b32_e32 v8, 0
	s_mov_b32 s0, 0x3c439041
	v_mad_u64_u32 v[9:10], s[0:1], v15, s0, v[7:8]
	s_mov_b32 s0, 0xdb629599
	v_add_u32_e32 v14, 0xffffff88, v2
	v_mov_b32_e32 v7, v10
	v_mad_u64_u32 v[10:11], s[0:1], v15, s0, v[7:8]
	s_mov_b32 s0, 0xf534ddc0
	v_not_b32_e32 v16, 63
	v_mov_b32_e32 v7, v11
	v_mad_u64_u32 v[11:12], s[0:1], v15, s0, v[7:8]
	s_mov_b32 s0, 0xfc2757d1
	v_cmp_lt_u32_e32 vcc, 63, v14
	v_mov_b32_e32 v7, v12
	v_mad_u64_u32 v[12:13], s[0:1], v15, s0, v[7:8]
	v_cndmask_b32_e32 v7, 0, v16, vcc
	v_add_u32_e32 v16, v7, v14
	v_mov_b32_e32 v7, v13
	s_mov_b32 s0, 0x4e441529
	v_mad_u64_u32 v[13:14], s[0:1], v15, s0, v[7:8]
	v_not_b32_e32 v17, 31
	v_cmp_lt_u32_e64 s[0:1], 31, v16
	v_cndmask_b32_e64 v7, 0, v17, s[0:1]
	v_add_u32_e32 v16, v7, v16
	v_mov_b32_e32 v7, v14
	s_mov_b32 s2, 0xa2f9836e
	v_mad_u64_u32 v[7:8], s[2:3], v15, s2, v[7:8]
	v_cmp_lt_u32_e64 s[2:3], 31, v16
	v_cndmask_b32_e64 v14, 0, v17, s[2:3]
	v_cndmask_b32_e32 v15, v13, v11, vcc
	v_cndmask_b32_e32 v7, v7, v12, vcc
	;; [unrolled: 1-line block ×3, first 2 shown]
	v_add_u32_e32 v14, v14, v16
	v_cndmask_b32_e64 v16, v7, v15, s[0:1]
	v_cndmask_b32_e64 v7, v8, v7, s[0:1]
	v_cndmask_b32_e32 v8, v12, v10, vcc
	v_cndmask_b32_e64 v12, v15, v8, s[0:1]
	v_cndmask_b32_e32 v9, v11, v9, vcc
	v_cndmask_b32_e64 v7, v7, v16, s[2:3]
	v_cndmask_b32_e64 v13, v16, v12, s[2:3]
	v_sub_u32_e32 v15, 32, v14
	v_cndmask_b32_e64 v8, v8, v9, s[0:1]
	v_alignbit_b32 v16, v7, v13, v15
	v_cmp_eq_u32_e64 s[4:5], 0, v14
	v_cndmask_b32_e64 v11, v12, v8, s[2:3]
	v_cndmask_b32_e64 v7, v16, v7, s[4:5]
	v_alignbit_b32 v12, v13, v11, v15
	v_cndmask_b32_e32 v6, v10, v6, vcc
	v_cndmask_b32_e64 v12, v12, v13, s[4:5]
	v_bfe_u32 v16, v7, 29, 1
	v_cndmask_b32_e64 v6, v9, v6, s[0:1]
	v_alignbit_b32 v13, v7, v12, 30
	v_sub_u32_e32 v17, 0, v16
	v_cndmask_b32_e64 v6, v8, v6, s[2:3]
	v_xor_b32_e32 v13, v13, v17
	v_alignbit_b32 v8, v11, v6, v15
	v_cndmask_b32_e64 v8, v8, v11, s[4:5]
	v_ffbh_u32_e32 v10, v13
	v_alignbit_b32 v9, v12, v8, 30
	v_min_u32_e32 v10, 32, v10
	v_alignbit_b32 v6, v8, v6, 30
	v_xor_b32_e32 v9, v9, v17
	v_sub_u32_e32 v11, 31, v10
	v_xor_b32_e32 v6, v6, v17
	v_alignbit_b32 v12, v13, v9, v11
	v_alignbit_b32 v6, v9, v6, v11
	;; [unrolled: 1-line block ×3, first 2 shown]
	v_ffbh_u32_e32 v9, v8
	v_min_u32_e32 v9, 32, v9
	v_lshrrev_b32_e32 v14, 29, v7
	v_not_b32_e32 v11, v9
	v_alignbit_b32 v6, v8, v6, v11
	v_lshlrev_b32_e32 v8, 31, v14
	v_or_b32_e32 v11, 0x33000000, v8
	v_add_lshl_u32 v9, v9, v10, 23
	v_lshrrev_b32_e32 v6, 9, v6
	v_sub_u32_e32 v9, v11, v9
	v_or_b32_e32 v8, 0.5, v8
	v_lshlrev_b32_e32 v10, 23, v10
	v_or_b32_e32 v6, v9, v6
	v_lshrrev_b32_e32 v9, 9, v12
	v_sub_u32_e32 v8, v8, v10
	v_or_b32_e32 v8, v9, v8
	s_mov_b32 s0, 0x3fc90fda
	v_mul_f32_e32 v9, 0x3fc90fda, v8
	v_fma_f32 v10, v8, s0, -v9
	v_fmac_f32_e32 v10, 0x33a22168, v8
	v_fmac_f32_e32 v10, 0x3fc90fda, v6
	v_lshrrev_b32_e32 v7, 30, v7
	v_add_f32_e32 v6, v9, v10
	v_add_u32_e32 v7, v16, v7
	s_andn2_saveexec_b64 s[0:1], s[12:13]
	s_cbranch_execz .LBB5_14
	s_branch .LBB5_13
.LBB5_12:
	s_andn2_saveexec_b64 s[0:1], s[12:13]
	s_cbranch_execz .LBB5_14
.LBB5_13:
	s_mov_b32 s2, 0x3f22f983
	v_mul_f32_e64 v6, |v3|, s2
	v_rndne_f32_e32 v8, v6
	s_mov_b32 s2, 0xbfc90fda
	v_cvt_i32_f32_e32 v7, v8
	v_fma_f32 v6, v8, s2, |v3|
	v_fmac_f32_e32 v6, 0xb3a22168, v8
	v_fmac_f32_e32 v6, 0xa7c234c4, v8
.LBB5_14:
	s_or_b64 exec, exec, s[0:1]
                                        ; implicit-def: $vgpr9
                                        ; implicit-def: $vgpr8
	s_and_saveexec_b64 s[0:1], s[6:7]
	s_xor_b64 s[6:7], exec, s[0:1]
	s_cbranch_execz .LBB5_16
; %bb.15:
	v_and_b32_e32 v8, 0x7fffff, v5
	v_or_b32_e32 v17, 0x800000, v8
	s_mov_b32 s0, 0xfe5163ab
	v_mad_u64_u32 v[8:9], s[0:1], v17, s0, 0
	v_mov_b32_e32 v10, 0
	s_mov_b32 s0, 0x3c439041
	v_mad_u64_u32 v[11:12], s[0:1], v17, s0, v[9:10]
	s_mov_b32 s0, 0xdb629599
	v_add_u32_e32 v2, 0xffffff88, v2
	v_mov_b32_e32 v9, v12
	v_mad_u64_u32 v[12:13], s[0:1], v17, s0, v[9:10]
	s_mov_b32 s0, 0xf534ddc0
	v_not_b32_e32 v16, 63
	v_mov_b32_e32 v9, v13
	v_mad_u64_u32 v[13:14], s[0:1], v17, s0, v[9:10]
	s_mov_b32 s0, 0xfc2757d1
	v_cmp_lt_u32_e32 vcc, 63, v2
	v_mov_b32_e32 v9, v14
	v_mad_u64_u32 v[14:15], s[0:1], v17, s0, v[9:10]
	v_cndmask_b32_e32 v9, 0, v16, vcc
	v_add_u32_e32 v2, v9, v2
	v_mov_b32_e32 v9, v15
	s_mov_b32 s0, 0x4e441529
	v_mad_u64_u32 v[15:16], s[0:1], v17, s0, v[9:10]
	v_not_b32_e32 v18, 31
	v_cmp_lt_u32_e64 s[0:1], 31, v2
	v_cndmask_b32_e64 v9, 0, v18, s[0:1]
	v_add_u32_e32 v2, v9, v2
	v_mov_b32_e32 v9, v16
	s_mov_b32 s2, 0xa2f9836e
	v_mad_u64_u32 v[9:10], s[2:3], v17, s2, v[9:10]
	v_cmp_lt_u32_e64 s[2:3], 31, v2
	v_cndmask_b32_e64 v16, 0, v18, s[2:3]
	v_add_u32_e32 v2, v16, v2
	v_cndmask_b32_e32 v16, v15, v13, vcc
	v_cndmask_b32_e32 v9, v9, v14, vcc
	v_cndmask_b32_e32 v10, v10, v15, vcc
	v_cndmask_b32_e64 v17, v9, v16, s[0:1]
	v_cndmask_b32_e64 v9, v10, v9, s[0:1]
	v_cndmask_b32_e32 v10, v14, v12, vcc
	v_cndmask_b32_e64 v14, v16, v10, s[0:1]
	v_cndmask_b32_e64 v9, v9, v17, s[2:3]
	v_cndmask_b32_e64 v15, v17, v14, s[2:3]
	v_sub_u32_e32 v16, 32, v2
	v_alignbit_b32 v17, v9, v15, v16
	v_cmp_eq_u32_e64 s[4:5], 0, v2
	v_cndmask_b32_e64 v2, v17, v9, s[4:5]
	v_cndmask_b32_e32 v9, v13, v11, vcc
	v_cndmask_b32_e64 v10, v10, v9, s[0:1]
	v_cndmask_b32_e64 v11, v14, v10, s[2:3]
	v_alignbit_b32 v13, v15, v11, v16
	v_cndmask_b32_e32 v8, v12, v8, vcc
	v_cndmask_b32_e64 v13, v13, v15, s[4:5]
	v_bfe_u32 v17, v2, 29, 1
	v_cndmask_b32_e64 v8, v9, v8, s[0:1]
	v_alignbit_b32 v14, v2, v13, 30
	v_sub_u32_e32 v18, 0, v17
	v_cndmask_b32_e64 v8, v10, v8, s[2:3]
	v_xor_b32_e32 v14, v14, v18
	v_alignbit_b32 v9, v11, v8, v16
	v_cndmask_b32_e64 v9, v9, v11, s[4:5]
	v_ffbh_u32_e32 v11, v14
	v_alignbit_b32 v10, v13, v9, 30
	v_min_u32_e32 v11, 32, v11
	v_alignbit_b32 v8, v9, v8, 30
	v_xor_b32_e32 v10, v10, v18
	v_sub_u32_e32 v12, 31, v11
	v_xor_b32_e32 v8, v8, v18
	v_alignbit_b32 v13, v14, v10, v12
	v_alignbit_b32 v8, v10, v8, v12
	;; [unrolled: 1-line block ×3, first 2 shown]
	v_ffbh_u32_e32 v10, v9
	v_min_u32_e32 v10, 32, v10
	v_lshrrev_b32_e32 v15, 29, v2
	v_not_b32_e32 v12, v10
	v_alignbit_b32 v8, v9, v8, v12
	v_lshlrev_b32_e32 v9, 31, v15
	v_or_b32_e32 v12, 0x33000000, v9
	v_add_lshl_u32 v10, v10, v11, 23
	v_lshrrev_b32_e32 v8, 9, v8
	v_sub_u32_e32 v10, v12, v10
	v_or_b32_e32 v9, 0.5, v9
	v_lshlrev_b32_e32 v11, 23, v11
	v_or_b32_e32 v8, v10, v8
	v_lshrrev_b32_e32 v10, 9, v13
	v_sub_u32_e32 v9, v9, v11
	v_or_b32_e32 v9, v10, v9
	s_mov_b32 s0, 0x3fc90fda
	v_mul_f32_e32 v10, 0x3fc90fda, v9
	v_fma_f32 v11, v9, s0, -v10
	v_fmac_f32_e32 v11, 0x33a22168, v9
	v_fmac_f32_e32 v11, 0x3fc90fda, v8
	v_lshrrev_b32_e32 v2, 30, v2
	v_add_f32_e32 v8, v10, v11
	v_add_u32_e32 v9, v17, v2
	s_andn2_saveexec_b64 s[0:1], s[6:7]
	s_cbranch_execnz .LBB5_17
	s_branch .LBB5_18
.LBB5_16:
	s_andn2_saveexec_b64 s[0:1], s[6:7]
	s_cbranch_execz .LBB5_18
.LBB5_17:
	s_mov_b32 s2, 0x3f22f983
	v_mul_f32_e64 v2, |v3|, s2
	v_rndne_f32_e32 v2, v2
	s_mov_b32 s2, 0xbfc90fda
	v_cvt_i32_f32_e32 v9, v2
	v_fma_f32 v8, v2, s2, |v3|
	v_fmac_f32_e32 v8, 0xb3a22168, v2
	v_fmac_f32_e32 v8, 0xa7c234c4, v2
.LBB5_18:
	s_or_b64 exec, exec, s[0:1]
	v_ashrrev_i32_e32 v2, 31, v1
	s_lshr_b32 s0, s17, 31
	v_lshlrev_b64 v[1:2], 1, v[1:2]
	s_add_i32 s0, s17, s0
	s_ashr_i32 s0, s0, 1
	v_mov_b32_e32 v10, s9
	v_add_co_u32_e32 v1, vcc, s8, v1
	s_ashr_i32 s1, s0, 31
	v_addc_co_u32_e32 v2, vcc, v10, v2, vcc
	s_lshl_b64 s[0:1], s[0:1], 1
	global_load_ushort v10, v[1:2], off
	v_mov_b32_e32 v11, s1
	v_add_co_u32_e32 v1, vcc, s0, v1
	v_addc_co_u32_e32 v2, vcc, v2, v11, vcc
	global_load_ushort v2, v[1:2], off
	v_ashrrev_i32_e32 v1, 31, v0
	v_lshlrev_b64 v[0:1], 1, v[0:1]
	v_mov_b32_e32 v17, s11
	v_add_co_u32_e32 v0, vcc, s10, v0
	v_mul_f32_e32 v12, v6, v6
	v_mov_b32_e32 v16, 0xbab64f3b
	v_addc_co_u32_e32 v1, vcc, v17, v1, vcc
	v_mov_b32_e32 v17, 0xbab64f3b
	v_mul_f32_e32 v19, v8, v8
	v_mov_b32_e32 v13, 0x3c0881c4
	v_mov_b32_e32 v14, 0x3c0881c4
	;; [unrolled: 1-line block ×3, first 2 shown]
	v_fmac_f32_e32 v17, 0x37d75334, v12
	v_fmac_f32_e32 v16, 0x37d75334, v19
	v_mov_b32_e32 v15, 0xbe2aaa9d
	v_fmac_f32_e32 v14, 0xb94c1982, v12
	v_fmac_f32_e32 v13, 0xb94c1982, v19
	v_fma_f32 v17, v12, v17, v18
	v_fmac_f32_e32 v18, v19, v16
	v_lshlrev_b32_e32 v16, 30, v9
	v_fma_f32 v14, v12, v14, v15
	v_fmac_f32_e32 v15, v19, v13
	v_mov_b32_e32 v13, 0xbf000004
	v_xor_b32_e32 v5, v5, v3
	v_and_b32_e32 v16, 0x80000000, v16
	v_xor_b32_e32 v5, v5, v16
	v_and_b32_e32 v16, 1, v7
	v_fma_f32 v17, v12, v17, v13
	v_mul_f32_e32 v14, v12, v14
	v_fmac_f32_e32 v13, v19, v18
	v_and_b32_e32 v9, 1, v9
	v_mul_f32_e32 v15, v19, v15
	v_fmac_f32_e32 v6, v6, v14
	v_fma_f32 v12, v12, v17, 1.0
	v_cmp_eq_u32_e32 vcc, 0, v16
	v_fmac_f32_e32 v8, v8, v15
	v_fma_f32 v13, v19, v13, 1.0
	v_cndmask_b32_e64 v6, -v6, v12, vcc
	v_cmp_eq_u32_e32 vcc, 0, v9
	v_lshlrev_b32_e32 v7, 30, v7
	v_cndmask_b32_e32 v8, v13, v8, vcc
	v_and_b32_e32 v7, 0x80000000, v7
	v_xor_b32_e32 v8, v5, v8
	v_add_co_u32_e32 v5, vcc, s0, v0
	s_movk_i32 s1, 0x1f8
	v_xor_b32_e32 v7, v7, v6
	v_addc_co_u32_e32 v6, vcc, v1, v11, vcc
	v_mov_b32_e32 v18, 0x7fc00000
	v_cmp_class_f32_e64 vcc, v3, s1
	v_cndmask_b32_e32 v3, v18, v7, vcc
	v_cndmask_b32_e32 v7, v18, v8, vcc
	v_mul_f32_e32 v3, v4, v3
	v_mul_f32_e32 v4, v4, v7
	s_waitcnt vmcnt(1)
	v_cvt_f32_f16_e32 v8, v10
	v_mul_f32_e32 v7, v4, v8
	s_waitcnt vmcnt(0)
	v_cvt_f32_f16_e32 v9, v2
	v_fma_mixlo_f16 v2, v3, v2, v7 op_sel_hi:[0,1,0]
	v_mul_f32_e32 v4, v4, v9
	v_fma_mixlo_f16 v3, v3, v10, -v4 op_sel_hi:[0,1,0]
	global_store_short v[0:1], v3, off
	global_store_short v[5:6], v2, off
.LBB5_19:
	s_endpgm
	.section	.rodata,"a",@progbits
	.p2align	6, 0x0
	.amdhsa_kernel _ZL9rope_neoxILb1ELb1E6__halfS0_EvPKT1_PT2_iiiiiiiiiiPKifff14rope_corr_dimsfPKfPKli
		.amdhsa_group_segment_fixed_size 0
		.amdhsa_private_segment_fixed_size 0
		.amdhsa_kernarg_size 368
		.amdhsa_user_sgpr_count 6
		.amdhsa_user_sgpr_private_segment_buffer 1
		.amdhsa_user_sgpr_dispatch_ptr 0
		.amdhsa_user_sgpr_queue_ptr 0
		.amdhsa_user_sgpr_kernarg_segment_ptr 1
		.amdhsa_user_sgpr_dispatch_id 0
		.amdhsa_user_sgpr_flat_scratch_init 0
		.amdhsa_user_sgpr_private_segment_size 0
		.amdhsa_uses_dynamic_stack 0
		.amdhsa_system_sgpr_private_segment_wavefront_offset 0
		.amdhsa_system_sgpr_workgroup_id_x 1
		.amdhsa_system_sgpr_workgroup_id_y 1
		.amdhsa_system_sgpr_workgroup_id_z 0
		.amdhsa_system_sgpr_workgroup_info 0
		.amdhsa_system_vgpr_workitem_id 1
		.amdhsa_next_free_vgpr 20
		.amdhsa_next_free_sgpr 18
		.amdhsa_reserve_vcc 1
		.amdhsa_reserve_flat_scratch 0
		.amdhsa_float_round_mode_32 0
		.amdhsa_float_round_mode_16_64 0
		.amdhsa_float_denorm_mode_32 3
		.amdhsa_float_denorm_mode_16_64 3
		.amdhsa_dx10_clamp 1
		.amdhsa_ieee_mode 1
		.amdhsa_fp16_overflow 0
		.amdhsa_exception_fp_ieee_invalid_op 0
		.amdhsa_exception_fp_denorm_src 0
		.amdhsa_exception_fp_ieee_div_zero 0
		.amdhsa_exception_fp_ieee_overflow 0
		.amdhsa_exception_fp_ieee_underflow 0
		.amdhsa_exception_fp_ieee_inexact 0
		.amdhsa_exception_int_div_zero 0
	.end_amdhsa_kernel
	.section	.text._ZL9rope_neoxILb1ELb1E6__halfS0_EvPKT1_PT2_iiiiiiiiiiPKifff14rope_corr_dimsfPKfPKli,"axG",@progbits,_ZL9rope_neoxILb1ELb1E6__halfS0_EvPKT1_PT2_iiiiiiiiiiPKifff14rope_corr_dimsfPKfPKli,comdat
.Lfunc_end5:
	.size	_ZL9rope_neoxILb1ELb1E6__halfS0_EvPKT1_PT2_iiiiiiiiiiPKifff14rope_corr_dimsfPKfPKli, .Lfunc_end5-_ZL9rope_neoxILb1ELb1E6__halfS0_EvPKT1_PT2_iiiiiiiiiiPKifff14rope_corr_dimsfPKfPKli
                                        ; -- End function
	.set _ZL9rope_neoxILb1ELb1E6__halfS0_EvPKT1_PT2_iiiiiiiiiiPKifff14rope_corr_dimsfPKfPKli.num_vgpr, 20
	.set _ZL9rope_neoxILb1ELb1E6__halfS0_EvPKT1_PT2_iiiiiiiiiiPKifff14rope_corr_dimsfPKfPKli.num_agpr, 0
	.set _ZL9rope_neoxILb1ELb1E6__halfS0_EvPKT1_PT2_iiiiiiiiiiPKifff14rope_corr_dimsfPKfPKli.numbered_sgpr, 18
	.set _ZL9rope_neoxILb1ELb1E6__halfS0_EvPKT1_PT2_iiiiiiiiiiPKifff14rope_corr_dimsfPKfPKli.num_named_barrier, 0
	.set _ZL9rope_neoxILb1ELb1E6__halfS0_EvPKT1_PT2_iiiiiiiiiiPKifff14rope_corr_dimsfPKfPKli.private_seg_size, 0
	.set _ZL9rope_neoxILb1ELb1E6__halfS0_EvPKT1_PT2_iiiiiiiiiiPKifff14rope_corr_dimsfPKfPKli.uses_vcc, 1
	.set _ZL9rope_neoxILb1ELb1E6__halfS0_EvPKT1_PT2_iiiiiiiiiiPKifff14rope_corr_dimsfPKfPKli.uses_flat_scratch, 0
	.set _ZL9rope_neoxILb1ELb1E6__halfS0_EvPKT1_PT2_iiiiiiiiiiPKifff14rope_corr_dimsfPKfPKli.has_dyn_sized_stack, 0
	.set _ZL9rope_neoxILb1ELb1E6__halfS0_EvPKT1_PT2_iiiiiiiiiiPKifff14rope_corr_dimsfPKfPKli.has_recursion, 0
	.set _ZL9rope_neoxILb1ELb1E6__halfS0_EvPKT1_PT2_iiiiiiiiiiPKifff14rope_corr_dimsfPKfPKli.has_indirect_call, 0
	.section	.AMDGPU.csdata,"",@progbits
; Kernel info:
; codeLenInByte = 3904
; TotalNumSgprs: 22
; NumVgprs: 20
; ScratchSize: 0
; MemoryBound: 0
; FloatMode: 240
; IeeeMode: 1
; LDSByteSize: 0 bytes/workgroup (compile time only)
; SGPRBlocks: 2
; VGPRBlocks: 4
; NumSGPRsForWavesPerEU: 22
; NumVGPRsForWavesPerEU: 20
; Occupancy: 10
; WaveLimiterHint : 0
; COMPUTE_PGM_RSRC2:SCRATCH_EN: 0
; COMPUTE_PGM_RSRC2:USER_SGPR: 6
; COMPUTE_PGM_RSRC2:TRAP_HANDLER: 0
; COMPUTE_PGM_RSRC2:TGID_X_EN: 1
; COMPUTE_PGM_RSRC2:TGID_Y_EN: 1
; COMPUTE_PGM_RSRC2:TGID_Z_EN: 0
; COMPUTE_PGM_RSRC2:TIDIG_COMP_CNT: 1
	.section	.text._ZL10rope_multiILb1ELb0EfEvPKT1_PS0_iiiiiiiiiiPKifff14rope_corr_dimsfPKf14mrope_sectionsb,"axG",@progbits,_ZL10rope_multiILb1ELb0EfEvPKT1_PS0_iiiiiiiiiiPKifff14rope_corr_dimsfPKf14mrope_sectionsb,comdat
	.globl	_ZL10rope_multiILb1ELb0EfEvPKT1_PS0_iiiiiiiiiiPKifff14rope_corr_dimsfPKf14mrope_sectionsb ; -- Begin function _ZL10rope_multiILb1ELb0EfEvPKT1_PS0_iiiiiiiiiiPKifff14rope_corr_dimsfPKf14mrope_sectionsb
	.p2align	8
	.type	_ZL10rope_multiILb1ELb0EfEvPKT1_PS0_iiiiiiiiiiPKifff14rope_corr_dimsfPKf14mrope_sectionsb,@function
_ZL10rope_multiILb1ELb0EfEvPKT1_PS0_iiiiiiiiiiPKifff14rope_corr_dimsfPKf14mrope_sectionsb: ; @_ZL10rope_multiILb1ELb0EfEvPKT1_PS0_iiiiiiiiiiPKifff14rope_corr_dimsfPKf14mrope_sectionsb
; %bb.0:
	s_load_dword s2, s[4:5], 0x84
	s_load_dwordx8 s[8:15], s[4:5], 0x10
	s_add_u32 s0, s4, 0x78
	s_addc_u32 s1, s5, 0
	s_waitcnt lgkmcnt(0)
	s_lshr_b32 s2, s2, 16
	s_mul_i32 s7, s7, s2
	v_add_lshl_u32 v5, s7, v1, 1
	v_cmp_gt_i32_e32 vcc, s8, v5
	s_and_saveexec_b64 s[2:3], vcc
	s_cbranch_execz .LBB6_44
; %bb.1:
	s_mul_i32 s2, s10, s9
	s_abs_i32 s3, s2
	v_cvt_f32_u32_e32 v1, s3
	s_load_dword s0, s[0:1], 0xc
	s_sub_i32 s1, 0, s3
	v_cvt_f32_u32_e32 v2, s9
	v_rcp_iflag_f32_e32 v1, v1
	s_waitcnt lgkmcnt(0)
	s_and_b32 s0, s0, 0xffff
	s_mul_i32 s6, s6, s0
	v_mul_f32_e32 v1, 0x4f7ffffe, v1
	v_cvt_u32_f32_e32 v1, v1
	v_add_u32_e32 v0, s6, v0
	v_sub_u32_e32 v4, 0, v0
	v_max_i32_e32 v4, v0, v4
	v_mul_lo_u32 v3, s1, v1
	v_rcp_iflag_f32_e32 v2, v2
	s_sub_i32 s0, 0, s9
	v_xor_b32_e32 v6, s2, v0
	v_mul_hi_u32 v3, v1, v3
	v_mul_f32_e32 v2, 0x4f7ffffe, v2
	v_cvt_u32_f32_e32 v2, v2
	v_ashrrev_i32_e32 v6, 31, v6
	v_add_u32_e32 v1, v1, v3
	v_mul_hi_u32 v1, v4, v1
	v_mul_lo_u32 v3, s0, v2
	s_load_dwordx2 s[6:7], s[4:5], 0x30
	s_load_dwordx4 s[16:19], s[4:5], 0x0
	v_mul_lo_u32 v7, v1, s3
	v_add_u32_e32 v8, 1, v1
	v_mul_hi_u32 v3, v2, v3
	v_sub_u32_e32 v4, v4, v7
	v_cmp_le_u32_e32 vcc, s3, v4
	v_subrev_u32_e32 v7, s3, v4
	v_cndmask_b32_e32 v1, v1, v8, vcc
	v_cndmask_b32_e32 v4, v4, v7, vcc
	v_add_u32_e32 v7, 1, v1
	v_cmp_le_u32_e32 vcc, s3, v4
	v_cndmask_b32_e32 v1, v1, v7, vcc
	v_xor_b32_e32 v1, v1, v6
	v_sub_u32_e32 v4, v1, v6
	v_mul_lo_u32 v1, s2, v4
	v_add_u32_e32 v2, v2, v3
	v_sub_u32_e32 v6, v0, v1
	v_mul_hi_u32 v0, v6, v2
	v_ashrrev_i32_e32 v2, 1, v5
	v_mul_lo_u32 v1, v0, s9
	v_add_u32_e32 v3, 1, v0
	v_sub_u32_e32 v1, v6, v1
	v_cmp_le_u32_e32 vcc, s9, v1
	v_cndmask_b32_e32 v0, v0, v3, vcc
	v_subrev_u32_e32 v3, s9, v1
	v_cndmask_b32_e32 v1, v1, v3, vcc
	v_add_u32_e32 v3, 1, v0
	v_cmp_le_u32_e32 vcc, s9, v1
	v_cndmask_b32_e32 v3, v0, v3, vcc
	v_mul_lo_u32 v7, v3, s9
	s_waitcnt lgkmcnt(0)
	v_mad_u64_u32 v[0:1], s[0:1], v4, s6, v[2:3]
	v_mul_lo_u32 v1, v3, s15
	v_sub_u32_e32 v6, v6, v7
	v_mul_lo_u32 v8, v6, s14
	v_mul_lo_u32 v9, v6, s11
	;; [unrolled: 1-line block ×3, first 2 shown]
	v_mad_u64_u32 v[6:7], s[0:1], v4, s13, v[2:3]
	v_add3_u32 v0, v0, v1, v8
	v_cmp_le_i32_e32 vcc, s7, v5
	v_add3_u32 v1, v6, v10, v9
	s_and_saveexec_b64 s[0:1], vcc
	s_xor_b64 s[0:1], exec, s[0:1]
	s_cbranch_execz .LBB6_3
; %bb.2:
	v_add_u32_e32 v3, v1, v2
	v_ashrrev_i32_e32 v4, 31, v3
	v_lshlrev_b64 v[3:4], 2, v[3:4]
	v_mov_b32_e32 v1, s17
	v_add_co_u32_e32 v3, vcc, s16, v3
	v_addc_co_u32_e32 v4, vcc, v1, v4, vcc
	global_load_dword v5, v[3:4], off
	v_add_u32_e32 v0, v0, v2
	v_ashrrev_i32_e32 v1, 31, v0
	v_lshlrev_b64 v[0:1], 2, v[0:1]
	v_mov_b32_e32 v2, s19
	v_add_co_u32_e32 v0, vcc, s18, v0
	v_addc_co_u32_e32 v1, vcc, v2, v1, vcc
	s_waitcnt vmcnt(0)
	global_store_dword v[0:1], v5, off
	global_load_dword v2, v[3:4], off offset:4
                                        ; implicit-def: $vgpr3
                                        ; implicit-def: $vgpr5
	s_waitcnt vmcnt(0)
	global_store_dword v[0:1], v2, off offset:4
                                        ; implicit-def: $vgpr1
                                        ; implicit-def: $vgpr0
                                        ; implicit-def: $vgpr2
.LBB6_3:
	s_andn2_saveexec_b64 s[0:1], s[0:1]
	s_cbranch_execz .LBB6_44
; %bb.4:
	s_load_dwordx4 s[20:23], s[4:5], 0x60
	s_load_dwordx2 s[8:9], s[4:5], 0x50
	v_sub_u32_e32 v7, 0, v2
	v_max_i32_e32 v7, v2, v7
	s_waitcnt lgkmcnt(0)
	s_add_i32 s1, s21, s20
	s_add_i32 s0, s1, s22
	;; [unrolled: 1-line block ×3, first 2 shown]
	s_abs_i32 s2, s2
	v_cvt_f32_u32_e32 v4, s2
	s_sub_i32 s3, 0, s2
	v_rcp_iflag_f32_e32 v4, v4
	v_mul_f32_e32 v4, 0x4f7ffffe, v4
	v_cvt_u32_f32_e32 v4, v4
	v_mul_lo_u32 v6, s3, v4
	s_load_dword s3, s[4:5], 0x70
	s_load_dwordx2 s[24:25], s[4:5], 0x38
	s_load_dwordx4 s[12:15], s[4:5], 0x40
	s_waitcnt lgkmcnt(0)
	s_and_b32 s3, s3, 1
	v_mul_hi_u32 v6, v4, v6
	s_cmp_eq_u32 s3, 0
	v_add_u32_e32 v4, v4, v6
	v_mul_hi_u32 v4, v7, v4
	v_ashrrev_i32_e32 v6, 31, v2
	v_mul_lo_u32 v4, v4, s2
	v_sub_u32_e32 v4, v7, v4
	v_subrev_u32_e32 v7, s2, v4
	v_cmp_le_u32_e32 vcc, s2, v4
	v_cndmask_b32_e32 v4, v4, v7, vcc
	v_subrev_u32_e32 v7, s2, v4
	v_cmp_le_u32_e32 vcc, s2, v4
	v_cndmask_b32_e32 v4, v4, v7, vcc
	v_xor_b32_e32 v4, v4, v6
	v_sub_u32_e32 v6, v4, v6
	s_cbranch_scc0 .LBB6_20
; %bb.5:
	v_cmp_le_i32_e32 vcc, s20, v6
                                        ; implicit-def: $vgpr7
	s_and_saveexec_b64 s[2:3], vcc
	s_xor_b64 s[26:27], exec, s[2:3]
	s_cbranch_execz .LBB6_15
; %bb.6:
	v_cmp_le_i32_e32 vcc, s1, v6
                                        ; implicit-def: $vgpr7
	s_and_saveexec_b64 s[2:3], vcc
	s_xor_b64 s[28:29], exec, s[2:3]
	s_cbranch_execz .LBB6_12
; %bb.7:
	v_cvt_f32_i32_e32 v4, v5
	v_cmp_le_i32_e32 vcc, s0, v6
	v_cmp_neq_f32_e64 s[0:1], s9, 1.0
	v_mov_b32_e32 v8, s9
	v_mul_f32_e32 v4, 0.5, v4
	v_cndmask_b32_e64 v7, 1.0, v4, s[0:1]
	v_cmp_neq_f32_e64 s[0:1], 0, v7
	v_cndmask_b32_e64 v4, 1.0, v8, s[0:1]
	v_frexp_mant_f32_e64 v8, |v4|
	s_mov_b32 s0, 0x3f2aaaab
	v_cmp_gt_f32_e64 s[0:1], s0, v8
	v_cndmask_b32_e64 v9, 1.0, 2.0, s[0:1]
	v_mul_f32_e32 v8, v8, v9
	v_add_f32_e32 v9, 1.0, v8
	v_rcp_f32_e32 v10, v9
	v_add_f32_e32 v11, -1.0, v8
	v_add_f32_e32 v12, -1.0, v9
	v_sub_f32_e32 v8, v8, v12
	v_mul_f32_e32 v12, v11, v10
	v_mul_f32_e32 v13, v9, v12
	v_fma_f32 v9, v12, v9, -v13
	v_fmac_f32_e32 v9, v12, v8
	v_add_f32_e32 v8, v13, v9
	v_sub_f32_e32 v14, v11, v8
	v_sub_f32_e32 v13, v8, v13
	;; [unrolled: 1-line block ×5, first 2 shown]
	v_add_f32_e32 v8, v9, v8
	v_add_f32_e32 v8, v14, v8
	v_mul_f32_e32 v8, v10, v8
	v_add_f32_e32 v10, v12, v8
	v_sub_f32_e32 v9, v10, v12
	v_sub_f32_e32 v11, v8, v9
	v_mul_f32_e32 v8, v10, v10
	v_fma_f32 v9, v10, v10, -v8
	v_add_f32_e32 v12, v11, v11
	v_fmac_f32_e32 v9, v10, v12
	v_add_f32_e32 v12, v8, v9
	v_mov_b32_e32 v13, 0x3e91f4c4
	v_sub_f32_e32 v8, v12, v8
	v_fmac_f32_e32 v13, 0x3e76c4e1, v12
	v_mov_b32_e32 v14, 0x3ecccdef
	v_sub_f32_e32 v8, v9, v8
	v_mul_f32_e32 v9, v10, v12
	v_fmac_f32_e32 v14, v12, v13
	v_fma_f32 v13, v12, v10, -v9
	v_fmac_f32_e32 v13, v12, v11
	v_fmac_f32_e32 v13, v8, v10
	v_add_f32_e32 v15, v9, v13
	v_sub_f32_e32 v9, v15, v9
	v_sub_f32_e32 v13, v13, v9
	v_mul_f32_e32 v9, v12, v14
	v_fma_f32 v12, v12, v14, -v9
	v_fmac_f32_e32 v12, v8, v14
	v_add_f32_e32 v14, v9, v12
	v_sub_f32_e32 v8, v14, v9
	v_sub_f32_e32 v12, v12, v8
	v_cvt_f64_f32_e64 v[8:9], |v4|
	v_add_f32_e32 v16, 0x3f2aaaaa, v14
	v_add_f32_e32 v17, 0xbf2aaaaa, v16
	v_add_f32_e32 v12, 0x31739010, v12
	v_frexp_exp_i32_f64_e32 v8, v[8:9]
	v_sub_f32_e32 v14, v14, v17
	v_add_f32_e32 v9, v12, v14
	v_add_f32_e32 v12, v16, v9
	v_sub_f32_e32 v14, v16, v12
	v_add_f32_e32 v9, v9, v14
	v_mul_f32_e32 v14, v15, v12
	v_fma_f32 v16, v15, v12, -v14
	v_subbrev_co_u32_e64 v8, s[0:1], 0, v8, s[0:1]
	v_cvt_f32_i32_e32 v8, v8
	v_fmac_f32_e32 v16, v15, v9
	s_mov_b32 s0, 0x3f317218
	v_fmac_f32_e32 v16, v13, v12
	v_mul_f32_e32 v9, 0x3f317218, v8
	v_fma_f32 v12, v8, s0, -v9
	v_fmac_f32_e32 v12, 0xb102e308, v8
	v_ldexp_f32 v8, v11, 1
	v_add_f32_e32 v11, v9, v12
	v_sub_f32_e32 v9, v11, v9
	v_ldexp_f32 v10, v10, 1
	v_sub_f32_e32 v9, v12, v9
	v_add_f32_e32 v12, v14, v16
	v_sub_f32_e32 v13, v12, v14
	v_add_f32_e32 v14, v10, v12
	v_sub_f32_e32 v13, v16, v13
	v_sub_f32_e32 v10, v14, v10
	;; [unrolled: 1-line block ×3, first 2 shown]
	v_add_f32_e32 v8, v8, v13
	v_add_f32_e32 v8, v8, v10
	;; [unrolled: 1-line block ×3, first 2 shown]
	v_sub_f32_e32 v12, v10, v14
	v_sub_f32_e32 v8, v8, v12
	v_add_f32_e32 v12, v11, v10
	v_sub_f32_e32 v13, v12, v11
	v_sub_f32_e32 v14, v12, v13
	;; [unrolled: 1-line block ×4, first 2 shown]
	v_add_f32_e32 v10, v10, v11
	v_add_f32_e32 v11, v9, v8
	v_sub_f32_e32 v13, v11, v9
	v_sub_f32_e32 v14, v11, v13
	;; [unrolled: 1-line block ×4, first 2 shown]
	v_add_f32_e32 v8, v8, v9
	v_add_f32_e32 v9, v11, v10
	;; [unrolled: 1-line block ×3, first 2 shown]
	v_sub_f32_e32 v11, v10, v12
	v_sub_f32_e32 v9, v9, v11
	v_add_f32_e32 v8, v8, v9
	v_add_f32_e32 v9, v10, v8
	v_sub_f32_e32 v10, v9, v10
	v_sub_f32_e32 v8, v8, v10
	v_mul_f32_e32 v10, v7, v9
	v_fma_f32 v9, v7, v9, -v10
	v_fmac_f32_e32 v9, v7, v8
	s_movk_i32 s6, 0x204
	v_add_f32_e32 v8, v10, v9
	v_cmp_class_f32_e64 s[0:1], v10, s6
	v_sub_f32_e32 v11, v8, v10
	v_cndmask_b32_e64 v8, v8, v10, s[0:1]
	s_mov_b32 s3, 0x42b17218
	v_mov_b32_e32 v10, 0x37000000
	v_cmp_eq_f32_e64 s[0:1], s3, v8
	v_cndmask_b32_e64 v10, 0, v10, s[0:1]
	v_sub_f32_e32 v9, v9, v11
	v_sub_f32_e32 v11, v8, v10
	s_mov_b32 s0, 0x3fb8aa3b
	v_mul_f32_e32 v12, 0x3fb8aa3b, v11
	v_fma_f32 v13, v11, s0, -v12
	v_rndne_f32_e32 v14, v12
	v_fmac_f32_e32 v13, 0x32a5705f, v11
	v_sub_f32_e32 v12, v12, v14
	v_add_f32_e32 v12, v12, v13
	v_exp_f32_e32 v12, v12
	v_cvt_i32_f32_e32 v13, v14
	s_mov_b32 s2, 0x7f800000
	v_cmp_neq_f32_e64 s[0:1], |v8|, s2
	v_cndmask_b32_e64 v8, 0, v9, s[0:1]
	s_mov_b32 s0, 0xc2ce8ed0
	v_ldexp_f32 v9, v12, v13
	v_cmp_ngt_f32_e64 s[0:1], s0, v11
	v_add_f32_e32 v8, v10, v8
	v_cndmask_b32_e64 v9, 0, v9, s[0:1]
	v_mov_b32_e32 v10, 0x7f800000
	v_cmp_nlt_f32_e64 s[0:1], s3, v11
	v_cndmask_b32_e64 v9, v10, v9, s[0:1]
	v_fma_f32 v8, v9, v8, v9
	v_cmp_class_f32_e64 s[0:1], v9, s6
	v_cndmask_b32_e64 v8, v8, v9, s[0:1]
	v_trunc_f32_e32 v9, v7
	v_cmp_eq_f32_e64 s[0:1], v9, v7
	v_mul_f32_e32 v9, 0.5, v7
	v_trunc_f32_e32 v12, v9
	v_cmp_neq_f32_e64 s[2:3], v12, v9
	s_and_b64 s[2:3], s[0:1], s[2:3]
	v_cndmask_b32_e64 v9, 1.0, v4, s[2:3]
	s_brev_b32 s11, -2
	v_mov_b32_e32 v11, 0x7fc00000
	v_bfi_b32 v8, s11, v8, v9
	v_cndmask_b32_e64 v9, v11, v8, s[0:1]
	v_cmp_gt_f32_e64 s[0:1], 0, v4
	v_cndmask_b32_e64 v8, v8, v9, s[0:1]
	v_cmp_neq_f32_e64 s[0:1], v7, |v7|
	v_cmp_lt_f32_e64 s[4:5], |v4|, 1.0
	s_xor_b64 s[0:1], s[0:1], s[4:5]
	v_cndmask_b32_e64 v9, v10, 0, s[0:1]
	v_cmp_neq_f32_e64 s[0:1], |v4|, 1.0
	v_cndmask_b32_e64 v9, 1.0, v9, s[0:1]
	v_cmp_class_f32_e64 s[0:1], v7, s6
	v_cndmask_b32_e64 v8, v8, v9, s[0:1]
	v_cmp_eq_f32_e64 s[0:1], 0, v4
	v_cmp_gt_f32_e64 s[4:5], 0, v7
	s_xor_b64 s[4:5], s[4:5], s[0:1]
	v_cmp_class_f32_e64 s[30:31], v4, s6
	v_cndmask_b32_e64 v7, v10, 0, s[4:5]
	v_cndmask_b32_e64 v9, 0, v4, s[2:3]
	v_bfi_b32 v7, s11, v7, v9
	s_or_b64 s[0:1], s[0:1], s[30:31]
	v_cndmask_b32_e64 v7, v8, v7, s[0:1]
	v_cmp_o_f32_e64 s[0:1], v4, v4
	v_cndmask_b32_e64 v4, v11, v7, s[0:1]
                                        ; implicit-def: $vgpr7
	s_and_saveexec_b64 s[0:1], vcc
	s_xor_b64 s[0:1], exec, s[0:1]
	s_cbranch_execz .LBB6_9
; %bb.8:
	v_mad_u64_u32 v[7:8], s[2:3], s10, 3, v[3:4]
	v_mov_b32_e32 v8, 0
	v_mov_b32_e32 v9, s25
	v_lshlrev_b64 v[7:8], 2, v[7:8]
	v_add_co_u32_e32 v7, vcc, s24, v7
	v_addc_co_u32_e32 v8, vcc, v9, v8, vcc
	global_load_dword v7, v[7:8], off
	s_waitcnt vmcnt(0)
	v_cvt_f32_i32_e32 v7, v7
	v_mul_f32_e32 v7, v4, v7
                                        ; implicit-def: $vgpr4
.LBB6_9:
	s_andn2_saveexec_b64 s[0:1], s[0:1]
	s_cbranch_execz .LBB6_11
; %bb.10:
	v_lshl_add_u32 v7, s10, 1, v3
	v_mov_b32_e32 v8, 0
	v_lshlrev_b64 v[7:8], 2, v[7:8]
	v_mov_b32_e32 v9, s25
	v_add_co_u32_e32 v7, vcc, s24, v7
	v_addc_co_u32_e32 v8, vcc, v9, v8, vcc
	global_load_dword v7, v[7:8], off
	s_waitcnt vmcnt(0)
	v_cvt_f32_i32_e32 v7, v7
	v_mul_f32_e32 v7, v4, v7
.LBB6_11:
	s_or_b64 exec, exec, s[0:1]
.LBB6_12:
	s_andn2_saveexec_b64 s[4:5], s[28:29]
	s_cbranch_execz .LBB6_14
; %bb.13:
	v_add_u32_e32 v7, s10, v3
	v_mov_b32_e32 v8, 0
	v_lshlrev_b64 v[7:8], 2, v[7:8]
	v_mov_b32_e32 v4, s25
	v_add_co_u32_e32 v7, vcc, s24, v7
	v_addc_co_u32_e32 v8, vcc, v4, v8, vcc
	v_cvt_f32_i32_e32 v4, v5
	v_cmp_neq_f32_e64 vcc, s9, 1.0
	global_load_dword v8, v[7:8], off
	v_mov_b32_e32 v9, s9
	v_mul_f32_e32 v4, 0.5, v4
	v_cndmask_b32_e32 v7, 1.0, v4, vcc
	v_cmp_neq_f32_e32 vcc, 0, v7
	v_cndmask_b32_e32 v4, 1.0, v9, vcc
	s_mov_b32 s0, 0x3f2aaaab
	v_frexp_mant_f32_e64 v13, |v4|
	v_cmp_gt_f32_e32 vcc, s0, v13
	v_cndmask_b32_e64 v14, 1.0, 2.0, vcc
	v_mul_f32_e32 v13, v13, v14
	v_add_f32_e32 v15, 1.0, v13
	v_cvt_f64_f32_e64 v[9:10], |v4|
	v_rcp_f32_e32 v16, v15
	v_add_f32_e32 v14, -1.0, v13
	v_add_f32_e32 v17, -1.0, v15
	v_frexp_exp_i32_f64_e32 v9, v[9:10]
	v_sub_f32_e32 v10, v13, v17
	v_mul_f32_e32 v13, v14, v16
	v_mul_f32_e32 v17, v15, v13
	v_fma_f32 v15, v13, v15, -v17
	v_fmac_f32_e32 v15, v13, v10
	v_add_f32_e32 v10, v17, v15
	v_sub_f32_e32 v18, v14, v10
	v_sub_f32_e32 v17, v10, v17
	v_sub_f32_e32 v14, v14, v18
	v_sub_f32_e32 v15, v17, v15
	v_sub_f32_e32 v10, v14, v10
	v_add_f32_e32 v10, v15, v10
	v_add_f32_e32 v10, v18, v10
	v_mul_f32_e32 v10, v16, v10
	v_add_f32_e32 v14, v13, v10
	v_sub_f32_e32 v13, v14, v13
	v_mul_f32_e32 v15, v14, v14
	v_sub_f32_e32 v10, v10, v13
	v_fma_f32 v13, v14, v14, -v15
	v_add_f32_e32 v16, v10, v10
	v_fmac_f32_e32 v13, v14, v16
	v_mov_b32_e32 v11, 0x3e91f4c4
	v_add_f32_e32 v16, v15, v13
	v_mov_b32_e32 v12, 0x3ecccdef
	v_fmac_f32_e32 v11, 0x3e76c4e1, v16
	v_sub_f32_e32 v15, v16, v15
	v_mul_f32_e32 v17, v14, v16
	v_fmac_f32_e32 v12, v16, v11
	v_sub_f32_e32 v11, v13, v15
	v_fma_f32 v13, v16, v14, -v17
	v_fmac_f32_e32 v13, v16, v10
	v_mul_f32_e32 v15, v16, v12
	v_fmac_f32_e32 v13, v11, v14
	v_fma_f32 v16, v16, v12, -v15
	v_add_f32_e32 v18, v17, v13
	v_fmac_f32_e32 v16, v11, v12
	v_sub_f32_e32 v11, v18, v17
	v_add_f32_e32 v12, v15, v16
	v_sub_f32_e32 v11, v13, v11
	v_add_f32_e32 v13, 0x3f2aaaaa, v12
	v_sub_f32_e32 v15, v12, v15
	v_sub_f32_e32 v15, v16, v15
	v_add_f32_e32 v16, 0xbf2aaaaa, v13
	v_add_f32_e32 v15, 0x31739010, v15
	v_sub_f32_e32 v12, v12, v16
	v_subbrev_co_u32_e32 v9, vcc, 0, v9, vcc
	v_add_f32_e32 v12, v15, v12
	v_cvt_f32_i32_e32 v9, v9
	v_add_f32_e32 v15, v13, v12
	v_sub_f32_e32 v13, v13, v15
	v_mul_f32_e32 v16, v18, v15
	v_add_f32_e32 v12, v12, v13
	v_fma_f32 v13, v18, v15, -v16
	v_fmac_f32_e32 v13, v18, v12
	s_mov_b32 s1, 0x3f317218
	v_fmac_f32_e32 v13, v11, v15
	v_mul_f32_e32 v11, 0x3f317218, v9
	v_fma_f32 v12, v9, s1, -v11
	v_fmac_f32_e32 v12, 0xb102e308, v9
	v_ldexp_f32 v9, v10, 1
	v_ldexp_f32 v10, v14, 1
	v_add_f32_e32 v14, v11, v12
	v_sub_f32_e32 v11, v14, v11
	v_sub_f32_e32 v11, v12, v11
	v_add_f32_e32 v12, v16, v13
	v_sub_f32_e32 v15, v12, v16
	v_sub_f32_e32 v13, v13, v15
	v_add_f32_e32 v15, v10, v12
	v_sub_f32_e32 v10, v15, v10
	v_sub_f32_e32 v10, v12, v10
	v_add_f32_e32 v9, v9, v13
	v_add_f32_e32 v9, v9, v10
	;; [unrolled: 1-line block ×3, first 2 shown]
	v_sub_f32_e32 v12, v10, v15
	v_sub_f32_e32 v9, v9, v12
	v_add_f32_e32 v12, v14, v10
	v_sub_f32_e32 v13, v12, v14
	v_sub_f32_e32 v15, v12, v13
	;; [unrolled: 1-line block ×4, first 2 shown]
	v_add_f32_e32 v13, v11, v9
	v_add_f32_e32 v10, v10, v14
	v_sub_f32_e32 v14, v13, v11
	v_sub_f32_e32 v15, v13, v14
	;; [unrolled: 1-line block ×4, first 2 shown]
	v_add_f32_e32 v10, v13, v10
	v_add_f32_e32 v9, v9, v11
	;; [unrolled: 1-line block ×3, first 2 shown]
	v_sub_f32_e32 v12, v11, v12
	v_sub_f32_e32 v10, v10, v12
	v_add_f32_e32 v9, v9, v10
	v_add_f32_e32 v10, v11, v9
	v_sub_f32_e32 v11, v10, v11
	v_sub_f32_e32 v9, v9, v11
	v_mul_f32_e32 v11, v7, v10
	v_fma_f32 v10, v7, v10, -v11
	v_fmac_f32_e32 v10, v7, v9
	s_movk_i32 s6, 0x204
	v_add_f32_e32 v9, v11, v10
	v_cmp_class_f32_e64 vcc, v11, s6
	v_sub_f32_e32 v12, v9, v11
	v_cndmask_b32_e32 v9, v9, v11, vcc
	s_mov_b32 s1, 0x42b17218
	v_mov_b32_e32 v11, 0x37000000
	v_cmp_eq_f32_e32 vcc, s1, v9
	v_cndmask_b32_e32 v11, 0, v11, vcc
	v_sub_f32_e32 v10, v10, v12
	v_sub_f32_e32 v12, v9, v11
	s_mov_b32 s2, 0x3fb8aa3b
	v_mul_f32_e32 v13, 0x3fb8aa3b, v12
	v_fma_f32 v14, v12, s2, -v13
	v_rndne_f32_e32 v15, v13
	v_fmac_f32_e32 v14, 0x32a5705f, v12
	v_sub_f32_e32 v13, v13, v15
	v_add_f32_e32 v13, v13, v14
	v_exp_f32_e32 v13, v13
	v_cvt_i32_f32_e32 v14, v15
	s_mov_b32 s0, 0x7f800000
	v_cmp_neq_f32_e64 vcc, |v9|, s0
	s_mov_b32 s0, 0xc2ce8ed0
	v_cndmask_b32_e32 v9, 0, v10, vcc
	v_ldexp_f32 v10, v13, v14
	v_cmp_ngt_f32_e32 vcc, s0, v12
	v_add_f32_e32 v9, v11, v9
	v_cndmask_b32_e32 v10, 0, v10, vcc
	v_mov_b32_e32 v11, 0x7f800000
	v_cmp_nlt_f32_e32 vcc, s1, v12
	v_cndmask_b32_e32 v10, v11, v10, vcc
	v_fma_f32 v9, v10, v9, v10
	v_cmp_class_f32_e64 vcc, v10, s6
	v_cndmask_b32_e32 v9, v9, v10, vcc
	v_trunc_f32_e32 v10, v7
	v_cmp_eq_f32_e32 vcc, v10, v7
	v_mul_f32_e32 v10, 0.5, v7
	v_trunc_f32_e32 v13, v10
	v_cmp_neq_f32_e64 s[0:1], v13, v10
	s_and_b64 s[0:1], vcc, s[0:1]
	v_cndmask_b32_e64 v10, 1.0, v4, s[0:1]
	s_brev_b32 s11, -2
	v_mov_b32_e32 v12, 0x7fc00000
	v_bfi_b32 v9, s11, v9, v10
	v_cmp_neq_f32_e64 s[2:3], v7, |v7|
	v_cmp_lt_f32_e64 s[28:29], |v4|, 1.0
	v_cndmask_b32_e32 v10, v12, v9, vcc
	v_cmp_gt_f32_e32 vcc, 0, v4
	s_xor_b64 s[2:3], s[2:3], s[28:29]
	v_cndmask_b32_e32 v9, v9, v10, vcc
	v_cndmask_b32_e64 v10, v11, 0, s[2:3]
	v_cmp_neq_f32_e64 vcc, |v4|, 1.0
	v_cndmask_b32_e32 v10, 1.0, v10, vcc
	v_cmp_class_f32_e64 vcc, v7, s6
	v_cndmask_b32_e32 v9, v9, v10, vcc
	v_cmp_eq_f32_e32 vcc, 0, v4
	v_cmp_gt_f32_e64 s[2:3], 0, v7
	s_xor_b64 s[2:3], s[2:3], vcc
	s_waitcnt vmcnt(0)
	v_cvt_f32_i32_e32 v8, v8
	v_cmp_class_f32_e64 s[28:29], v4, s6
	v_cndmask_b32_e64 v7, v11, 0, s[2:3]
	v_cndmask_b32_e64 v10, 0, v4, s[0:1]
	v_bfi_b32 v7, s11, v7, v10
	s_or_b64 vcc, vcc, s[28:29]
	v_cndmask_b32_e32 v7, v9, v7, vcc
	v_cmp_o_f32_e32 vcc, v4, v4
	v_cndmask_b32_e32 v4, v12, v7, vcc
	v_mul_f32_e32 v7, v4, v8
.LBB6_14:
	s_or_b64 exec, exec, s[4:5]
.LBB6_15:
	s_andn2_saveexec_b64 s[4:5], s[26:27]
	s_cbranch_execz .LBB6_17
; %bb.16:
	v_mov_b32_e32 v4, 0
	v_lshlrev_b64 v[7:8], 2, v[3:4]
	v_mov_b32_e32 v4, s25
	v_add_co_u32_e32 v7, vcc, s24, v7
	v_addc_co_u32_e32 v8, vcc, v4, v8, vcc
	v_cvt_f32_i32_e32 v4, v5
	v_cmp_neq_f32_e64 vcc, s9, 1.0
	global_load_dword v8, v[7:8], off
	v_mov_b32_e32 v9, s9
	v_mul_f32_e32 v4, 0.5, v4
	v_cndmask_b32_e32 v7, 1.0, v4, vcc
	v_cmp_neq_f32_e32 vcc, 0, v7
	v_cndmask_b32_e32 v4, 1.0, v9, vcc
	s_mov_b32 s0, 0x3f2aaaab
	v_frexp_mant_f32_e64 v13, |v4|
	v_cmp_gt_f32_e32 vcc, s0, v13
	v_cndmask_b32_e64 v14, 1.0, 2.0, vcc
	v_mul_f32_e32 v13, v13, v14
	v_add_f32_e32 v15, 1.0, v13
	v_cvt_f64_f32_e64 v[9:10], |v4|
	v_rcp_f32_e32 v16, v15
	v_add_f32_e32 v14, -1.0, v13
	v_add_f32_e32 v17, -1.0, v15
	v_frexp_exp_i32_f64_e32 v9, v[9:10]
	v_sub_f32_e32 v10, v13, v17
	v_mul_f32_e32 v13, v14, v16
	v_mul_f32_e32 v17, v15, v13
	v_fma_f32 v15, v13, v15, -v17
	v_fmac_f32_e32 v15, v13, v10
	v_add_f32_e32 v10, v17, v15
	v_sub_f32_e32 v18, v14, v10
	v_sub_f32_e32 v17, v10, v17
	v_sub_f32_e32 v14, v14, v18
	v_sub_f32_e32 v15, v17, v15
	v_sub_f32_e32 v10, v14, v10
	v_add_f32_e32 v10, v15, v10
	v_add_f32_e32 v10, v18, v10
	v_mul_f32_e32 v10, v16, v10
	v_add_f32_e32 v15, v13, v10
	v_sub_f32_e32 v13, v15, v13
	v_mul_f32_e32 v16, v15, v15
	v_sub_f32_e32 v10, v10, v13
	v_fma_f32 v13, v15, v15, -v16
	v_add_f32_e32 v17, v10, v10
	v_fmac_f32_e32 v13, v15, v17
	v_mov_b32_e32 v11, 0x3e91f4c4
	v_add_f32_e32 v17, v16, v13
	v_mov_b32_e32 v12, 0x3ecccdef
	v_fmac_f32_e32 v11, 0x3e76c4e1, v17
	v_sub_f32_e32 v16, v17, v16
	v_mul_f32_e32 v18, v15, v17
	v_fmac_f32_e32 v12, v17, v11
	v_sub_f32_e32 v11, v13, v16
	v_fma_f32 v13, v17, v15, -v18
	v_fmac_f32_e32 v13, v17, v10
	v_mul_f32_e32 v16, v17, v12
	v_fmac_f32_e32 v13, v11, v15
	v_fma_f32 v17, v17, v12, -v16
	v_add_f32_e32 v19, v18, v13
	v_fmac_f32_e32 v17, v11, v12
	v_sub_f32_e32 v11, v19, v18
	v_add_f32_e32 v12, v16, v17
	v_sub_f32_e32 v11, v13, v11
	v_add_f32_e32 v13, 0x3f2aaaaa, v12
	v_sub_f32_e32 v16, v12, v16
	v_sub_f32_e32 v16, v17, v16
	v_add_f32_e32 v17, 0xbf2aaaaa, v13
	v_subbrev_co_u32_e32 v9, vcc, 0, v9, vcc
	v_add_f32_e32 v16, 0x31739010, v16
	v_sub_f32_e32 v12, v12, v17
	v_cvt_f32_i32_e32 v9, v9
	v_add_f32_e32 v12, v16, v12
	v_add_f32_e32 v16, v13, v12
	v_sub_f32_e32 v13, v13, v16
	v_mul_f32_e32 v17, v19, v16
	v_add_f32_e32 v12, v12, v13
	v_fma_f32 v13, v19, v16, -v17
	s_mov_b32 s1, 0x3f317218
	v_mul_f32_e32 v14, 0x3f317218, v9
	v_fmac_f32_e32 v13, v19, v12
	v_fmac_f32_e32 v13, v11, v16
	v_fma_f32 v11, v9, s1, -v14
	v_fmac_f32_e32 v11, 0xb102e308, v9
	v_add_f32_e32 v12, v14, v11
	v_sub_f32_e32 v14, v12, v14
	v_sub_f32_e32 v11, v11, v14
	v_add_f32_e32 v14, v17, v13
	v_ldexp_f32 v9, v10, 1
	v_ldexp_f32 v10, v15, 1
	v_sub_f32_e32 v15, v14, v17
	v_sub_f32_e32 v13, v13, v15
	v_add_f32_e32 v15, v10, v14
	v_sub_f32_e32 v10, v15, v10
	v_sub_f32_e32 v10, v14, v10
	v_add_f32_e32 v9, v9, v13
	v_add_f32_e32 v9, v9, v10
	;; [unrolled: 1-line block ×3, first 2 shown]
	v_sub_f32_e32 v13, v10, v15
	v_sub_f32_e32 v9, v9, v13
	v_add_f32_e32 v13, v12, v10
	v_sub_f32_e32 v14, v13, v12
	v_sub_f32_e32 v15, v13, v14
	v_sub_f32_e32 v12, v12, v15
	v_sub_f32_e32 v10, v10, v14
	v_add_f32_e32 v10, v10, v12
	v_add_f32_e32 v12, v11, v9
	v_sub_f32_e32 v14, v12, v11
	v_sub_f32_e32 v15, v12, v14
	;; [unrolled: 1-line block ×4, first 2 shown]
	v_add_f32_e32 v10, v12, v10
	v_add_f32_e32 v9, v9, v11
	;; [unrolled: 1-line block ×3, first 2 shown]
	v_sub_f32_e32 v12, v11, v13
	v_sub_f32_e32 v10, v10, v12
	v_add_f32_e32 v9, v9, v10
	v_add_f32_e32 v10, v11, v9
	v_sub_f32_e32 v11, v10, v11
	v_sub_f32_e32 v9, v9, v11
	v_mul_f32_e32 v11, v7, v10
	v_fma_f32 v10, v7, v10, -v11
	v_fmac_f32_e32 v10, v7, v9
	s_movk_i32 s6, 0x204
	v_add_f32_e32 v9, v11, v10
	v_cmp_class_f32_e64 vcc, v11, s6
	v_sub_f32_e32 v12, v9, v11
	v_cndmask_b32_e32 v9, v9, v11, vcc
	s_mov_b32 s1, 0x42b17218
	v_mov_b32_e32 v11, 0x37000000
	v_cmp_eq_f32_e32 vcc, s1, v9
	v_cndmask_b32_e32 v11, 0, v11, vcc
	v_sub_f32_e32 v10, v10, v12
	v_sub_f32_e32 v12, v9, v11
	s_mov_b32 s2, 0x3fb8aa3b
	v_mul_f32_e32 v13, 0x3fb8aa3b, v12
	v_fma_f32 v14, v12, s2, -v13
	v_rndne_f32_e32 v15, v13
	v_fmac_f32_e32 v14, 0x32a5705f, v12
	v_sub_f32_e32 v13, v13, v15
	v_add_f32_e32 v13, v13, v14
	v_exp_f32_e32 v13, v13
	v_cvt_i32_f32_e32 v14, v15
	s_mov_b32 s0, 0x7f800000
	v_cmp_neq_f32_e64 vcc, |v9|, s0
	s_mov_b32 s0, 0xc2ce8ed0
	v_cndmask_b32_e32 v9, 0, v10, vcc
	v_ldexp_f32 v10, v13, v14
	v_cmp_ngt_f32_e32 vcc, s0, v12
	v_add_f32_e32 v9, v11, v9
	v_cndmask_b32_e32 v10, 0, v10, vcc
	v_mov_b32_e32 v11, 0x7f800000
	v_cmp_nlt_f32_e32 vcc, s1, v12
	v_cndmask_b32_e32 v10, v11, v10, vcc
	v_fma_f32 v9, v10, v9, v10
	v_cmp_class_f32_e64 vcc, v10, s6
	v_cndmask_b32_e32 v9, v9, v10, vcc
	v_trunc_f32_e32 v10, v7
	v_cmp_eq_f32_e32 vcc, v10, v7
	v_mul_f32_e32 v10, 0.5, v7
	v_trunc_f32_e32 v13, v10
	v_cmp_neq_f32_e64 s[0:1], v13, v10
	s_and_b64 s[0:1], vcc, s[0:1]
	v_cndmask_b32_e64 v10, 1.0, v4, s[0:1]
	s_brev_b32 s11, -2
	v_mov_b32_e32 v12, 0x7fc00000
	v_bfi_b32 v9, s11, v9, v10
	v_cmp_neq_f32_e64 s[2:3], v7, |v7|
	v_cmp_lt_f32_e64 s[26:27], |v4|, 1.0
	v_cndmask_b32_e32 v10, v12, v9, vcc
	v_cmp_gt_f32_e32 vcc, 0, v4
	s_xor_b64 s[2:3], s[2:3], s[26:27]
	v_cndmask_b32_e32 v9, v9, v10, vcc
	v_cndmask_b32_e64 v10, v11, 0, s[2:3]
	v_cmp_neq_f32_e64 vcc, |v4|, 1.0
	v_cndmask_b32_e32 v10, 1.0, v10, vcc
	v_cmp_class_f32_e64 vcc, v7, s6
	v_cndmask_b32_e32 v9, v9, v10, vcc
	v_cmp_eq_f32_e32 vcc, 0, v4
	v_cmp_gt_f32_e64 s[2:3], 0, v7
	s_xor_b64 s[2:3], s[2:3], vcc
	s_waitcnt vmcnt(0)
	v_cvt_f32_i32_e32 v8, v8
	v_cmp_class_f32_e64 s[26:27], v4, s6
	v_cndmask_b32_e64 v7, v11, 0, s[2:3]
	v_cndmask_b32_e64 v10, 0, v4, s[0:1]
	v_bfi_b32 v7, s11, v7, v10
	s_or_b64 vcc, vcc, s[26:27]
	v_cndmask_b32_e32 v7, v9, v7, vcc
	v_cmp_o_f32_e32 vcc, v4, v4
	v_cndmask_b32_e32 v4, v12, v7, vcc
	v_mul_f32_e32 v7, v4, v8
.LBB6_17:
	s_or_b64 exec, exec, s[4:5]
	s_cbranch_execz .LBB6_21
; %bb.18:
	v_cmp_eq_f32_e64 s[0:1], s13, 0
	v_mul_f32_e32 v3, s12, v7
	s_and_b64 vcc, exec, s[0:1]
	s_cbranch_vccnz .LBB6_34
.LBB6_19:
	v_cvt_f32_i32_e32 v2, v2
	v_div_scale_f32 v5, s[0:1], s12, s12, 1.0
	v_mov_b32_e32 v4, s15
	v_sub_f32_e32 v4, s8, v4
	v_subrev_f32_e32 v2, s15, v2
	v_max_f32_e32 v4, 0x3a83126f, v4
	v_div_scale_f32 v6, s[0:1], v4, v4, v2
	v_div_scale_f32 v8, s[0:1], 1.0, s12, 1.0
	v_div_scale_f32 v9, vcc, v2, v4, v2
	s_mov_b32 s2, 0x3f317217
	s_mov_b32 s3, 0x7f800000
	v_rcp_f32_e32 v10, v5
	v_fma_f32 v11, -v5, v10, 1.0
	v_fmac_f32_e32 v10, v11, v10
	v_rcp_f32_e32 v12, v6
	v_mul_f32_e32 v11, v8, v10
	v_fma_f32 v13, -v5, v11, v8
	v_fmac_f32_e32 v11, v13, v10
	v_fma_f32 v13, -v6, v12, 1.0
	v_fmac_f32_e32 v12, v13, v12
	v_fma_f32 v5, -v5, v11, v8
	v_mul_f32_e32 v8, v9, v12
	v_fma_f32 v13, -v6, v8, v9
	v_fmac_f32_e32 v8, v13, v12
	v_fma_f32 v6, -v6, v8, v9
	v_div_fmas_f32 v6, v6, v12, v8
	s_mov_b64 vcc, s[0:1]
	v_div_fmas_f32 v5, v5, v10, v11
	s_mov_b32 s0, 0x800000
	v_mov_b32_e32 v8, 0x41b17218
	v_div_fixup_f32 v2, v6, v4, v2 clamp
	v_sub_f32_e32 v2, 1.0, v2
	v_div_fixup_f32 v4, v5, s12, 1.0
	v_cmp_gt_f32_e32 vcc, s0, v4
	s_and_b64 s[0:1], vcc, exec
	s_cselect_b32 s0, 32, 0
	v_ldexp_f32 v4, v4, s0
	v_log_f32_e32 v4, v4
	v_mul_f32_e32 v5, s13, v2
	v_fma_f32 v2, -s13, v2, 1.0
	v_mul_f32_e32 v3, v2, v3
	v_mul_f32_e32 v2, 0x3f317217, v4
	v_fma_f32 v2, v4, s2, -v2
	v_fmac_f32_e32 v2, 0x3377d1cf, v4
	v_cndmask_b32_e32 v6, 0, v8, vcc
	v_fmac_f32_e32 v2, 0x3f317217, v4
	v_cmp_lt_f32_e64 vcc, |v4|, s3
	v_cndmask_b32_e32 v2, v4, v2, vcc
	v_sub_f32_e32 v2, v2, v6
	s_mov_b32 s0, 0x3dcccccd
	v_fma_f32 v2, v2, s0, 1.0
	v_fmac_f32_e32 v3, v5, v7
	v_mul_f32_e32 v4, s14, v2
	s_branch .LBB6_35
.LBB6_20:
                                        ; implicit-def: $vgpr7
.LBB6_21:
	s_mov_b32 s0, 0x55555556
	v_mul_hi_i32 v4, v6, s0
	s_mul_i32 s0, s21, 3
	v_cmp_le_i32_e64 s[0:1], s0, v6
	v_lshrrev_b32_e32 v7, 31, v4
	v_add_u32_e32 v4, v4, v7
	v_lshl_add_u32 v4, v4, 1, v4
	v_sub_u32_e32 v4, v6, v4
	v_cmp_ne_u32_e32 vcc, 1, v4
	s_or_b64 s[0:1], vcc, s[0:1]
                                        ; implicit-def: $vgpr7
	s_and_saveexec_b64 s[2:3], s[0:1]
	s_xor_b64 s[4:5], exec, s[2:3]
	s_cbranch_execz .LBB6_31
; %bb.22:
	s_mul_i32 s0, s22, 3
	v_cmp_ne_u32_e32 vcc, 2, v4
	v_cmp_le_i32_e64 s[0:1], s0, v6
	s_or_b64 s[0:1], vcc, s[0:1]
                                        ; implicit-def: $vgpr7
	s_and_saveexec_b64 s[2:3], s[0:1]
	s_xor_b64 s[22:23], exec, s[2:3]
	s_cbranch_execz .LBB6_28
; %bb.23:
	s_mul_i32 s0, s20, 3
	v_cmp_ne_u32_e32 vcc, 0, v4
	v_cmp_le_i32_e64 s[0:1], s0, v6
	s_or_b64 s[0:1], vcc, s[0:1]
                                        ; implicit-def: $vgpr7
	s_and_saveexec_b64 s[2:3], s[0:1]
	s_xor_b64 s[20:21], exec, s[2:3]
	s_cbranch_execz .LBB6_25
; %bb.24:
	v_mad_u64_u32 v[3:4], s[0:1], s10, 3, v[3:4]
	v_mov_b32_e32 v4, 0
	v_mov_b32_e32 v6, s25
	v_lshlrev_b64 v[3:4], 2, v[3:4]
	s_mov_b32 s0, 0x3f2aaaab
	v_add_co_u32_e32 v3, vcc, s24, v3
	v_addc_co_u32_e32 v4, vcc, v6, v4, vcc
	global_load_dword v6, v[3:4], off
	v_cvt_f32_i32_e32 v3, v5
	v_cmp_neq_f32_e64 vcc, s9, 1.0
	v_mov_b32_e32 v5, s9
	v_mov_b32_e32 v9, 0x3e91f4c4
	v_mul_f32_e32 v3, 0.5, v3
	v_cndmask_b32_e32 v4, 1.0, v3, vcc
	v_cmp_neq_f32_e32 vcc, 0, v4
	v_cndmask_b32_e32 v3, 1.0, v5, vcc
	v_frexp_mant_f32_e64 v5, |v3|
	v_cmp_gt_f32_e32 vcc, s0, v5
	v_cndmask_b32_e64 v11, 1.0, 2.0, vcc
	v_mul_f32_e32 v5, v5, v11
	v_add_f32_e32 v12, 1.0, v5
	v_cvt_f64_f32_e64 v[7:8], |v3|
	v_rcp_f32_e32 v13, v12
	v_add_f32_e32 v11, -1.0, v5
	v_add_f32_e32 v14, -1.0, v12
	v_frexp_exp_i32_f64_e32 v7, v[7:8]
	v_mul_f32_e32 v8, v11, v13
	v_sub_f32_e32 v5, v5, v14
	v_mul_f32_e32 v14, v12, v8
	v_fma_f32 v12, v8, v12, -v14
	v_fmac_f32_e32 v12, v8, v5
	v_add_f32_e32 v5, v14, v12
	v_sub_f32_e32 v15, v11, v5
	v_sub_f32_e32 v14, v5, v14
	v_sub_f32_e32 v11, v11, v15
	v_sub_f32_e32 v12, v14, v12
	v_sub_f32_e32 v5, v11, v5
	v_add_f32_e32 v5, v12, v5
	v_add_f32_e32 v5, v15, v5
	v_mul_f32_e32 v5, v13, v5
	v_add_f32_e32 v13, v8, v5
	v_sub_f32_e32 v8, v13, v8
	v_mul_f32_e32 v14, v13, v13
	v_sub_f32_e32 v5, v5, v8
	v_fma_f32 v8, v13, v13, -v14
	v_add_f32_e32 v15, v5, v5
	v_fmac_f32_e32 v8, v13, v15
	v_add_f32_e32 v15, v14, v8
	v_mov_b32_e32 v10, 0x3ecccdef
	v_fmac_f32_e32 v9, 0x3e76c4e1, v15
	v_mul_f32_e32 v16, v13, v15
	v_sub_f32_e32 v14, v15, v14
	v_fmac_f32_e32 v10, v15, v9
	v_fma_f32 v9, v15, v13, -v16
	v_sub_f32_e32 v8, v8, v14
	v_fmac_f32_e32 v9, v15, v5
	v_mul_f32_e32 v14, v15, v10
	v_fmac_f32_e32 v9, v8, v13
	v_fma_f32 v15, v15, v10, -v14
	v_add_f32_e32 v17, v16, v9
	v_fmac_f32_e32 v15, v8, v10
	v_sub_f32_e32 v8, v17, v16
	v_add_f32_e32 v10, v14, v15
	v_subbrev_co_u32_e32 v7, vcc, 0, v7, vcc
	v_sub_f32_e32 v8, v9, v8
	v_add_f32_e32 v9, 0x3f2aaaaa, v10
	v_sub_f32_e32 v14, v10, v14
	v_cvt_f32_i32_e32 v7, v7
	v_sub_f32_e32 v14, v15, v14
	v_add_f32_e32 v15, 0xbf2aaaaa, v9
	v_add_f32_e32 v14, 0x31739010, v14
	v_sub_f32_e32 v10, v10, v15
	v_add_f32_e32 v10, v14, v10
	v_add_f32_e32 v14, v9, v10
	s_mov_b32 s1, 0x3f317218
	v_mul_f32_e32 v11, 0x3f317218, v7
	v_sub_f32_e32 v9, v9, v14
	v_mul_f32_e32 v15, v17, v14
	v_fma_f32 v12, v7, s1, -v11
	v_add_f32_e32 v9, v10, v9
	v_fma_f32 v10, v17, v14, -v15
	v_fmac_f32_e32 v10, v17, v9
	v_fmac_f32_e32 v12, 0xb102e308, v7
	;; [unrolled: 1-line block ×3, first 2 shown]
	v_add_f32_e32 v8, v11, v12
	v_sub_f32_e32 v9, v8, v11
	v_add_f32_e32 v11, v15, v10
	v_ldexp_f32 v7, v13, 1
	v_sub_f32_e32 v9, v12, v9
	v_sub_f32_e32 v12, v11, v15
	;; [unrolled: 1-line block ×3, first 2 shown]
	v_add_f32_e32 v12, v7, v11
	v_ldexp_f32 v5, v5, 1
	v_sub_f32_e32 v7, v12, v7
	v_sub_f32_e32 v7, v11, v7
	v_add_f32_e32 v5, v5, v10
	v_add_f32_e32 v5, v5, v7
	;; [unrolled: 1-line block ×3, first 2 shown]
	v_sub_f32_e32 v10, v7, v12
	v_sub_f32_e32 v5, v5, v10
	v_add_f32_e32 v10, v8, v7
	v_sub_f32_e32 v11, v10, v8
	v_sub_f32_e32 v12, v10, v11
	;; [unrolled: 1-line block ×4, first 2 shown]
	v_add_f32_e32 v7, v7, v8
	v_add_f32_e32 v8, v9, v5
	v_sub_f32_e32 v11, v8, v9
	v_sub_f32_e32 v12, v8, v11
	v_add_f32_e32 v7, v8, v7
	v_sub_f32_e32 v9, v9, v12
	v_sub_f32_e32 v5, v5, v11
	v_add_f32_e32 v8, v10, v7
	v_add_f32_e32 v5, v5, v9
	v_sub_f32_e32 v9, v8, v10
	v_sub_f32_e32 v7, v7, v9
	v_add_f32_e32 v5, v5, v7
	v_add_f32_e32 v7, v8, v5
	v_sub_f32_e32 v8, v7, v8
	v_sub_f32_e32 v5, v5, v8
	v_mul_f32_e32 v8, v4, v7
	v_fma_f32 v7, v4, v7, -v8
	v_fmac_f32_e32 v7, v4, v5
	s_movk_i32 s6, 0x204
	v_add_f32_e32 v5, v8, v7
	v_cmp_class_f32_e64 vcc, v8, s6
	v_sub_f32_e32 v9, v5, v8
	v_cndmask_b32_e32 v5, v5, v8, vcc
	s_mov_b32 s1, 0x42b17218
	v_mov_b32_e32 v8, 0x37000000
	v_cmp_eq_f32_e32 vcc, s1, v5
	v_cndmask_b32_e32 v8, 0, v8, vcc
	v_sub_f32_e32 v7, v7, v9
	v_sub_f32_e32 v9, v5, v8
	s_mov_b32 s2, 0x3fb8aa3b
	v_mul_f32_e32 v10, 0x3fb8aa3b, v9
	v_fma_f32 v11, v9, s2, -v10
	v_rndne_f32_e32 v12, v10
	v_fmac_f32_e32 v11, 0x32a5705f, v9
	v_sub_f32_e32 v10, v10, v12
	v_add_f32_e32 v10, v10, v11
	v_exp_f32_e32 v10, v10
	v_cvt_i32_f32_e32 v11, v12
	s_mov_b32 s0, 0x7f800000
	v_cmp_neq_f32_e64 vcc, |v5|, s0
	s_mov_b32 s0, 0xc2ce8ed0
	v_cndmask_b32_e32 v5, 0, v7, vcc
	v_ldexp_f32 v7, v10, v11
	v_cmp_ngt_f32_e32 vcc, s0, v9
	v_add_f32_e32 v5, v8, v5
	v_cndmask_b32_e32 v7, 0, v7, vcc
	v_mov_b32_e32 v8, 0x7f800000
	v_cmp_nlt_f32_e32 vcc, s1, v9
	v_cndmask_b32_e32 v7, v8, v7, vcc
	v_fma_f32 v5, v7, v5, v7
	v_cmp_class_f32_e64 vcc, v7, s6
	v_cndmask_b32_e32 v5, v5, v7, vcc
	v_trunc_f32_e32 v7, v4
	v_cmp_eq_f32_e32 vcc, v7, v4
	v_mul_f32_e32 v7, 0.5, v4
	v_trunc_f32_e32 v10, v7
	v_cmp_neq_f32_e64 s[0:1], v10, v7
	s_and_b64 s[0:1], vcc, s[0:1]
	v_cndmask_b32_e64 v7, 1.0, v3, s[0:1]
	s_brev_b32 s11, -2
	v_mov_b32_e32 v9, 0x7fc00000
	v_bfi_b32 v5, s11, v5, v7
	v_cmp_neq_f32_e64 s[2:3], v4, |v4|
	v_cmp_lt_f32_e64 s[26:27], |v3|, 1.0
	v_cndmask_b32_e32 v7, v9, v5, vcc
	v_cmp_gt_f32_e32 vcc, 0, v3
	s_xor_b64 s[2:3], s[2:3], s[26:27]
	v_cndmask_b32_e32 v5, v5, v7, vcc
	v_cndmask_b32_e64 v7, v8, 0, s[2:3]
	v_cmp_neq_f32_e64 vcc, |v3|, 1.0
	v_cndmask_b32_e32 v7, 1.0, v7, vcc
	v_cmp_class_f32_e64 vcc, v4, s6
	v_cndmask_b32_e32 v5, v5, v7, vcc
	v_cmp_eq_f32_e32 vcc, 0, v3
	v_cmp_gt_f32_e64 s[2:3], 0, v4
	s_xor_b64 s[2:3], s[2:3], vcc
	s_waitcnt vmcnt(0)
	v_cvt_f32_i32_e32 v6, v6
	v_cmp_class_f32_e64 s[26:27], v3, s6
	v_cndmask_b32_e64 v4, v8, 0, s[2:3]
	v_cndmask_b32_e64 v7, 0, v3, s[0:1]
	v_bfi_b32 v4, s11, v4, v7
	s_or_b64 vcc, vcc, s[26:27]
	v_cndmask_b32_e32 v4, v5, v4, vcc
	v_cmp_o_f32_e32 vcc, v3, v3
	v_cndmask_b32_e32 v3, v9, v4, vcc
	v_mul_f32_e32 v7, v3, v6
                                        ; implicit-def: $vgpr3
                                        ; implicit-def: $vgpr5
.LBB6_25:
	s_andn2_saveexec_b64 s[20:21], s[20:21]
	s_cbranch_execz .LBB6_27
; %bb.26:
	v_mov_b32_e32 v4, 0
	v_lshlrev_b64 v[3:4], 2, v[3:4]
	v_mov_b32_e32 v6, s25
	v_add_co_u32_e32 v3, vcc, s24, v3
	v_addc_co_u32_e32 v4, vcc, v6, v4, vcc
	global_load_dword v6, v[3:4], off
	v_cvt_f32_i32_e32 v3, v5
	v_cmp_neq_f32_e64 vcc, s9, 1.0
	v_mov_b32_e32 v5, s9
	s_mov_b32 s0, 0x3f2aaaab
	v_mul_f32_e32 v3, 0.5, v3
	v_cndmask_b32_e32 v4, 1.0, v3, vcc
	v_cmp_neq_f32_e32 vcc, 0, v4
	v_cndmask_b32_e32 v3, 1.0, v5, vcc
	v_frexp_mant_f32_e64 v5, |v3|
	v_cmp_gt_f32_e32 vcc, s0, v5
	v_cndmask_b32_e64 v11, 1.0, 2.0, vcc
	v_mul_f32_e32 v5, v5, v11
	v_add_f32_e32 v12, 1.0, v5
	v_cvt_f64_f32_e64 v[7:8], |v3|
	v_rcp_f32_e32 v13, v12
	v_add_f32_e32 v11, -1.0, v5
	v_add_f32_e32 v14, -1.0, v12
	v_frexp_exp_i32_f64_e32 v7, v[7:8]
	v_mul_f32_e32 v8, v11, v13
	v_sub_f32_e32 v5, v5, v14
	v_mul_f32_e32 v14, v12, v8
	v_fma_f32 v12, v8, v12, -v14
	v_fmac_f32_e32 v12, v8, v5
	v_add_f32_e32 v5, v14, v12
	v_sub_f32_e32 v15, v11, v5
	v_sub_f32_e32 v14, v5, v14
	;; [unrolled: 1-line block ×5, first 2 shown]
	v_add_f32_e32 v5, v12, v5
	v_add_f32_e32 v5, v15, v5
	v_mul_f32_e32 v5, v13, v5
	v_add_f32_e32 v12, v8, v5
	v_sub_f32_e32 v8, v12, v8
	v_mul_f32_e32 v13, v12, v12
	v_sub_f32_e32 v5, v5, v8
	v_fma_f32 v8, v12, v12, -v13
	v_add_f32_e32 v14, v5, v5
	v_fmac_f32_e32 v8, v12, v14
	v_mov_b32_e32 v9, 0x3e91f4c4
	v_add_f32_e32 v14, v13, v8
	v_mov_b32_e32 v10, 0x3ecccdef
	v_fmac_f32_e32 v9, 0x3e76c4e1, v14
	v_mul_f32_e32 v15, v12, v14
	v_sub_f32_e32 v13, v14, v13
	v_fmac_f32_e32 v10, v14, v9
	v_fma_f32 v9, v14, v12, -v15
	v_sub_f32_e32 v8, v8, v13
	v_fmac_f32_e32 v9, v14, v5
	v_mul_f32_e32 v13, v14, v10
	v_fmac_f32_e32 v9, v8, v12
	v_fma_f32 v14, v14, v10, -v13
	v_add_f32_e32 v16, v15, v9
	v_fmac_f32_e32 v14, v8, v10
	v_sub_f32_e32 v8, v16, v15
	v_add_f32_e32 v10, v13, v14
	v_sub_f32_e32 v8, v9, v8
	v_add_f32_e32 v9, 0x3f2aaaaa, v10
	v_sub_f32_e32 v13, v10, v13
	v_sub_f32_e32 v13, v14, v13
	v_add_f32_e32 v14, 0xbf2aaaaa, v9
	v_subbrev_co_u32_e32 v7, vcc, 0, v7, vcc
	v_add_f32_e32 v13, 0x31739010, v13
	v_sub_f32_e32 v10, v10, v14
	v_cvt_f32_i32_e32 v7, v7
	v_add_f32_e32 v10, v13, v10
	v_add_f32_e32 v13, v9, v10
	v_sub_f32_e32 v9, v9, v13
	v_mul_f32_e32 v14, v16, v13
	v_add_f32_e32 v9, v10, v9
	v_fma_f32 v10, v16, v13, -v14
	s_mov_b32 s1, 0x3f317218
	v_mul_f32_e32 v11, 0x3f317218, v7
	v_fmac_f32_e32 v10, v16, v9
	v_fmac_f32_e32 v10, v8, v13
	v_fma_f32 v8, v7, s1, -v11
	v_fmac_f32_e32 v8, 0xb102e308, v7
	v_add_f32_e32 v9, v11, v8
	v_sub_f32_e32 v11, v9, v11
	v_sub_f32_e32 v8, v8, v11
	v_add_f32_e32 v11, v14, v10
	v_ldexp_f32 v7, v12, 1
	v_sub_f32_e32 v12, v11, v14
	v_sub_f32_e32 v10, v10, v12
	v_add_f32_e32 v12, v7, v11
	v_ldexp_f32 v5, v5, 1
	v_sub_f32_e32 v7, v12, v7
	v_sub_f32_e32 v7, v11, v7
	v_add_f32_e32 v5, v5, v10
	v_add_f32_e32 v5, v5, v7
	;; [unrolled: 1-line block ×3, first 2 shown]
	v_sub_f32_e32 v10, v7, v12
	v_sub_f32_e32 v5, v5, v10
	v_add_f32_e32 v10, v9, v7
	v_sub_f32_e32 v11, v10, v9
	v_sub_f32_e32 v12, v10, v11
	;; [unrolled: 1-line block ×4, first 2 shown]
	v_add_f32_e32 v7, v7, v9
	v_add_f32_e32 v9, v8, v5
	v_sub_f32_e32 v11, v9, v8
	v_sub_f32_e32 v12, v9, v11
	;; [unrolled: 1-line block ×4, first 2 shown]
	v_add_f32_e32 v7, v9, v7
	v_add_f32_e32 v5, v5, v8
	;; [unrolled: 1-line block ×3, first 2 shown]
	v_sub_f32_e32 v9, v8, v10
	v_sub_f32_e32 v7, v7, v9
	v_add_f32_e32 v5, v5, v7
	v_add_f32_e32 v7, v8, v5
	v_sub_f32_e32 v8, v7, v8
	v_sub_f32_e32 v5, v5, v8
	v_mul_f32_e32 v8, v4, v7
	v_fma_f32 v7, v4, v7, -v8
	v_fmac_f32_e32 v7, v4, v5
	s_movk_i32 s6, 0x204
	v_add_f32_e32 v5, v8, v7
	v_cmp_class_f32_e64 vcc, v8, s6
	v_sub_f32_e32 v9, v5, v8
	v_cndmask_b32_e32 v5, v5, v8, vcc
	s_mov_b32 s1, 0x42b17218
	v_mov_b32_e32 v8, 0x37000000
	v_cmp_eq_f32_e32 vcc, s1, v5
	v_cndmask_b32_e32 v8, 0, v8, vcc
	v_sub_f32_e32 v7, v7, v9
	v_sub_f32_e32 v9, v5, v8
	s_mov_b32 s2, 0x3fb8aa3b
	v_mul_f32_e32 v10, 0x3fb8aa3b, v9
	v_fma_f32 v11, v9, s2, -v10
	v_rndne_f32_e32 v12, v10
	v_fmac_f32_e32 v11, 0x32a5705f, v9
	v_sub_f32_e32 v10, v10, v12
	v_add_f32_e32 v10, v10, v11
	v_exp_f32_e32 v10, v10
	v_cvt_i32_f32_e32 v11, v12
	s_mov_b32 s0, 0x7f800000
	v_cmp_neq_f32_e64 vcc, |v5|, s0
	s_mov_b32 s0, 0xc2ce8ed0
	v_cndmask_b32_e32 v5, 0, v7, vcc
	v_ldexp_f32 v7, v10, v11
	v_cmp_ngt_f32_e32 vcc, s0, v9
	v_add_f32_e32 v5, v8, v5
	v_cndmask_b32_e32 v7, 0, v7, vcc
	v_mov_b32_e32 v8, 0x7f800000
	v_cmp_nlt_f32_e32 vcc, s1, v9
	v_cndmask_b32_e32 v7, v8, v7, vcc
	v_fma_f32 v5, v7, v5, v7
	v_cmp_class_f32_e64 vcc, v7, s6
	v_cndmask_b32_e32 v5, v5, v7, vcc
	v_trunc_f32_e32 v7, v4
	v_cmp_eq_f32_e32 vcc, v7, v4
	v_mul_f32_e32 v7, 0.5, v4
	v_trunc_f32_e32 v10, v7
	v_cmp_neq_f32_e64 s[0:1], v10, v7
	s_and_b64 s[0:1], vcc, s[0:1]
	v_cndmask_b32_e64 v7, 1.0, v3, s[0:1]
	s_brev_b32 s11, -2
	v_mov_b32_e32 v9, 0x7fc00000
	v_bfi_b32 v5, s11, v5, v7
	v_cmp_neq_f32_e64 s[2:3], v4, |v4|
	v_cmp_lt_f32_e64 s[26:27], |v3|, 1.0
	v_cndmask_b32_e32 v7, v9, v5, vcc
	v_cmp_gt_f32_e32 vcc, 0, v3
	s_xor_b64 s[2:3], s[2:3], s[26:27]
	v_cndmask_b32_e32 v5, v5, v7, vcc
	v_cndmask_b32_e64 v7, v8, 0, s[2:3]
	v_cmp_neq_f32_e64 vcc, |v3|, 1.0
	v_cndmask_b32_e32 v7, 1.0, v7, vcc
	v_cmp_class_f32_e64 vcc, v4, s6
	v_cndmask_b32_e32 v5, v5, v7, vcc
	v_cmp_eq_f32_e32 vcc, 0, v3
	v_cmp_gt_f32_e64 s[2:3], 0, v4
	s_xor_b64 s[2:3], s[2:3], vcc
	s_waitcnt vmcnt(0)
	v_cvt_f32_i32_e32 v6, v6
	v_cmp_class_f32_e64 s[26:27], v3, s6
	v_cndmask_b32_e64 v4, v8, 0, s[2:3]
	v_cndmask_b32_e64 v7, 0, v3, s[0:1]
	v_bfi_b32 v4, s11, v4, v7
	s_or_b64 vcc, vcc, s[26:27]
	v_cndmask_b32_e32 v4, v5, v4, vcc
	v_cmp_o_f32_e32 vcc, v3, v3
	v_cndmask_b32_e32 v3, v9, v4, vcc
	v_mul_f32_e32 v7, v3, v6
.LBB6_27:
	s_or_b64 exec, exec, s[20:21]
                                        ; implicit-def: $vgpr3
                                        ; implicit-def: $vgpr5
.LBB6_28:
	s_andn2_saveexec_b64 s[20:21], s[22:23]
	s_cbranch_execz .LBB6_30
; %bb.29:
	v_lshl_add_u32 v3, s10, 1, v3
	v_mov_b32_e32 v4, 0
	v_lshlrev_b64 v[3:4], 2, v[3:4]
	v_mov_b32_e32 v6, s25
	v_add_co_u32_e32 v3, vcc, s24, v3
	v_addc_co_u32_e32 v4, vcc, v6, v4, vcc
	global_load_dword v6, v[3:4], off
	v_cvt_f32_i32_e32 v3, v5
	v_cmp_neq_f32_e64 vcc, s9, 1.0
	v_mov_b32_e32 v5, s9
	s_mov_b32 s0, 0x3f2aaaab
	v_mul_f32_e32 v3, 0.5, v3
	v_cndmask_b32_e32 v4, 1.0, v3, vcc
	v_cmp_neq_f32_e32 vcc, 0, v4
	v_cndmask_b32_e32 v3, 1.0, v5, vcc
	v_frexp_mant_f32_e64 v5, |v3|
	v_cmp_gt_f32_e32 vcc, s0, v5
	v_cndmask_b32_e64 v11, 1.0, 2.0, vcc
	v_mul_f32_e32 v5, v5, v11
	v_add_f32_e32 v12, 1.0, v5
	v_cvt_f64_f32_e64 v[7:8], |v3|
	v_rcp_f32_e32 v13, v12
	v_add_f32_e32 v11, -1.0, v5
	v_add_f32_e32 v14, -1.0, v12
	v_frexp_exp_i32_f64_e32 v7, v[7:8]
	v_mul_f32_e32 v8, v11, v13
	v_sub_f32_e32 v5, v5, v14
	v_mul_f32_e32 v14, v12, v8
	v_fma_f32 v12, v8, v12, -v14
	v_fmac_f32_e32 v12, v8, v5
	v_add_f32_e32 v5, v14, v12
	v_sub_f32_e32 v15, v11, v5
	v_sub_f32_e32 v14, v5, v14
	;; [unrolled: 1-line block ×5, first 2 shown]
	v_add_f32_e32 v5, v12, v5
	v_add_f32_e32 v5, v15, v5
	v_mul_f32_e32 v5, v13, v5
	v_add_f32_e32 v11, v8, v5
	v_sub_f32_e32 v8, v11, v8
	v_mul_f32_e32 v12, v11, v11
	v_sub_f32_e32 v5, v5, v8
	v_fma_f32 v8, v11, v11, -v12
	v_add_f32_e32 v13, v5, v5
	v_fmac_f32_e32 v8, v11, v13
	v_mov_b32_e32 v9, 0x3e91f4c4
	v_add_f32_e32 v13, v12, v8
	v_mov_b32_e32 v10, 0x3ecccdef
	v_fmac_f32_e32 v9, 0x3e76c4e1, v13
	v_mul_f32_e32 v14, v11, v13
	v_sub_f32_e32 v12, v13, v12
	v_fmac_f32_e32 v10, v13, v9
	v_fma_f32 v9, v13, v11, -v14
	v_sub_f32_e32 v8, v8, v12
	v_fmac_f32_e32 v9, v13, v5
	v_mul_f32_e32 v12, v13, v10
	v_fmac_f32_e32 v9, v8, v11
	v_fma_f32 v13, v13, v10, -v12
	v_add_f32_e32 v15, v14, v9
	v_fmac_f32_e32 v13, v8, v10
	v_sub_f32_e32 v8, v15, v14
	v_add_f32_e32 v10, v12, v13
	v_sub_f32_e32 v8, v9, v8
	v_add_f32_e32 v9, 0x3f2aaaaa, v10
	v_sub_f32_e32 v12, v10, v12
	v_sub_f32_e32 v12, v13, v12
	v_add_f32_e32 v13, 0xbf2aaaaa, v9
	v_add_f32_e32 v12, 0x31739010, v12
	v_sub_f32_e32 v10, v10, v13
	v_subbrev_co_u32_e32 v7, vcc, 0, v7, vcc
	v_add_f32_e32 v10, v12, v10
	v_cvt_f32_i32_e32 v7, v7
	v_add_f32_e32 v12, v9, v10
	v_sub_f32_e32 v9, v9, v12
	v_mul_f32_e32 v13, v15, v12
	v_add_f32_e32 v9, v10, v9
	v_fma_f32 v10, v15, v12, -v13
	v_fmac_f32_e32 v10, v15, v9
	s_mov_b32 s1, 0x3f317218
	v_fmac_f32_e32 v10, v8, v12
	v_mul_f32_e32 v8, 0x3f317218, v7
	v_fma_f32 v9, v7, s1, -v8
	v_fmac_f32_e32 v9, 0xb102e308, v7
	v_ldexp_f32 v7, v11, 1
	v_add_f32_e32 v11, v8, v9
	v_sub_f32_e32 v8, v11, v8
	v_sub_f32_e32 v8, v9, v8
	v_add_f32_e32 v9, v13, v10
	v_sub_f32_e32 v12, v9, v13
	v_sub_f32_e32 v10, v10, v12
	v_add_f32_e32 v12, v7, v9
	v_ldexp_f32 v5, v5, 1
	v_sub_f32_e32 v7, v12, v7
	v_sub_f32_e32 v7, v9, v7
	v_add_f32_e32 v5, v5, v10
	v_add_f32_e32 v5, v5, v7
	;; [unrolled: 1-line block ×3, first 2 shown]
	v_sub_f32_e32 v9, v7, v12
	v_sub_f32_e32 v5, v5, v9
	v_add_f32_e32 v9, v11, v7
	v_sub_f32_e32 v10, v9, v11
	v_sub_f32_e32 v12, v9, v10
	;; [unrolled: 1-line block ×4, first 2 shown]
	v_add_f32_e32 v10, v8, v5
	v_add_f32_e32 v7, v7, v11
	v_sub_f32_e32 v11, v10, v8
	v_sub_f32_e32 v12, v10, v11
	;; [unrolled: 1-line block ×4, first 2 shown]
	v_add_f32_e32 v7, v10, v7
	v_add_f32_e32 v5, v5, v8
	;; [unrolled: 1-line block ×3, first 2 shown]
	v_sub_f32_e32 v9, v8, v9
	v_sub_f32_e32 v7, v7, v9
	v_add_f32_e32 v5, v5, v7
	v_add_f32_e32 v7, v8, v5
	v_sub_f32_e32 v8, v7, v8
	v_sub_f32_e32 v5, v5, v8
	v_mul_f32_e32 v8, v4, v7
	v_fma_f32 v7, v4, v7, -v8
	v_fmac_f32_e32 v7, v4, v5
	s_movk_i32 s6, 0x204
	v_add_f32_e32 v5, v8, v7
	v_cmp_class_f32_e64 vcc, v8, s6
	v_sub_f32_e32 v9, v5, v8
	v_cndmask_b32_e32 v5, v5, v8, vcc
	s_mov_b32 s1, 0x42b17218
	v_mov_b32_e32 v8, 0x37000000
	v_cmp_eq_f32_e32 vcc, s1, v5
	v_cndmask_b32_e32 v8, 0, v8, vcc
	v_sub_f32_e32 v7, v7, v9
	v_sub_f32_e32 v9, v5, v8
	s_mov_b32 s2, 0x3fb8aa3b
	v_mul_f32_e32 v10, 0x3fb8aa3b, v9
	v_fma_f32 v11, v9, s2, -v10
	v_rndne_f32_e32 v12, v10
	v_fmac_f32_e32 v11, 0x32a5705f, v9
	v_sub_f32_e32 v10, v10, v12
	v_add_f32_e32 v10, v10, v11
	v_exp_f32_e32 v10, v10
	v_cvt_i32_f32_e32 v11, v12
	s_mov_b32 s0, 0x7f800000
	v_cmp_neq_f32_e64 vcc, |v5|, s0
	s_mov_b32 s0, 0xc2ce8ed0
	v_cndmask_b32_e32 v5, 0, v7, vcc
	v_ldexp_f32 v7, v10, v11
	v_cmp_ngt_f32_e32 vcc, s0, v9
	v_add_f32_e32 v5, v8, v5
	v_cndmask_b32_e32 v7, 0, v7, vcc
	v_mov_b32_e32 v8, 0x7f800000
	v_cmp_nlt_f32_e32 vcc, s1, v9
	v_cndmask_b32_e32 v7, v8, v7, vcc
	v_fma_f32 v5, v7, v5, v7
	v_cmp_class_f32_e64 vcc, v7, s6
	v_cndmask_b32_e32 v5, v5, v7, vcc
	v_trunc_f32_e32 v7, v4
	v_cmp_eq_f32_e32 vcc, v7, v4
	v_mul_f32_e32 v7, 0.5, v4
	v_trunc_f32_e32 v10, v7
	v_cmp_neq_f32_e64 s[0:1], v10, v7
	s_and_b64 s[0:1], vcc, s[0:1]
	v_cndmask_b32_e64 v7, 1.0, v3, s[0:1]
	s_brev_b32 s11, -2
	v_mov_b32_e32 v9, 0x7fc00000
	v_bfi_b32 v5, s11, v5, v7
	v_cmp_neq_f32_e64 s[2:3], v4, |v4|
	v_cmp_lt_f32_e64 s[22:23], |v3|, 1.0
	v_cndmask_b32_e32 v7, v9, v5, vcc
	v_cmp_gt_f32_e32 vcc, 0, v3
	s_xor_b64 s[2:3], s[2:3], s[22:23]
	v_cndmask_b32_e32 v5, v5, v7, vcc
	v_cndmask_b32_e64 v7, v8, 0, s[2:3]
	v_cmp_neq_f32_e64 vcc, |v3|, 1.0
	v_cndmask_b32_e32 v7, 1.0, v7, vcc
	v_cmp_class_f32_e64 vcc, v4, s6
	v_cndmask_b32_e32 v5, v5, v7, vcc
	v_cmp_eq_f32_e32 vcc, 0, v3
	v_cmp_gt_f32_e64 s[2:3], 0, v4
	s_xor_b64 s[2:3], s[2:3], vcc
	s_waitcnt vmcnt(0)
	v_cvt_f32_i32_e32 v6, v6
	v_cmp_class_f32_e64 s[22:23], v3, s6
	v_cndmask_b32_e64 v4, v8, 0, s[2:3]
	v_cndmask_b32_e64 v7, 0, v3, s[0:1]
	v_bfi_b32 v4, s11, v4, v7
	s_or_b64 vcc, vcc, s[22:23]
	v_cndmask_b32_e32 v4, v5, v4, vcc
	v_cmp_o_f32_e32 vcc, v3, v3
	v_cndmask_b32_e32 v3, v9, v4, vcc
	v_mul_f32_e32 v7, v3, v6
.LBB6_30:
	s_or_b64 exec, exec, s[20:21]
                                        ; implicit-def: $vgpr3
                                        ; implicit-def: $vgpr5
.LBB6_31:
	s_andn2_saveexec_b64 s[4:5], s[4:5]
	s_cbranch_execz .LBB6_33
; %bb.32:
	v_add_u32_e32 v3, s10, v3
	v_mov_b32_e32 v4, 0
	v_lshlrev_b64 v[3:4], 2, v[3:4]
	v_mov_b32_e32 v6, s25
	v_add_co_u32_e32 v3, vcc, s24, v3
	v_addc_co_u32_e32 v4, vcc, v6, v4, vcc
	global_load_dword v6, v[3:4], off
	v_cvt_f32_i32_e32 v3, v5
	v_cmp_neq_f32_e64 vcc, s9, 1.0
	v_mov_b32_e32 v5, s9
	s_mov_b32 s0, 0x3f2aaaab
	v_mul_f32_e32 v3, 0.5, v3
	v_cndmask_b32_e32 v4, 1.0, v3, vcc
	v_cmp_neq_f32_e32 vcc, 0, v4
	v_cndmask_b32_e32 v3, 1.0, v5, vcc
	v_frexp_mant_f32_e64 v5, |v3|
	v_cmp_gt_f32_e32 vcc, s0, v5
	v_cndmask_b32_e64 v11, 1.0, 2.0, vcc
	v_mul_f32_e32 v5, v5, v11
	v_add_f32_e32 v12, 1.0, v5
	v_cvt_f64_f32_e64 v[7:8], |v3|
	v_rcp_f32_e32 v13, v12
	v_add_f32_e32 v11, -1.0, v5
	v_add_f32_e32 v14, -1.0, v12
	v_frexp_exp_i32_f64_e32 v7, v[7:8]
	v_mul_f32_e32 v8, v11, v13
	v_sub_f32_e32 v5, v5, v14
	v_mul_f32_e32 v14, v12, v8
	v_fma_f32 v12, v8, v12, -v14
	v_fmac_f32_e32 v12, v8, v5
	v_add_f32_e32 v5, v14, v12
	v_sub_f32_e32 v15, v11, v5
	v_sub_f32_e32 v14, v5, v14
	;; [unrolled: 1-line block ×5, first 2 shown]
	v_add_f32_e32 v5, v12, v5
	v_add_f32_e32 v5, v15, v5
	v_mul_f32_e32 v5, v13, v5
	v_add_f32_e32 v11, v8, v5
	v_sub_f32_e32 v8, v11, v8
	v_mul_f32_e32 v12, v11, v11
	v_sub_f32_e32 v5, v5, v8
	v_fma_f32 v8, v11, v11, -v12
	v_add_f32_e32 v13, v5, v5
	v_fmac_f32_e32 v8, v11, v13
	v_mov_b32_e32 v9, 0x3e91f4c4
	v_add_f32_e32 v13, v12, v8
	v_mov_b32_e32 v10, 0x3ecccdef
	v_fmac_f32_e32 v9, 0x3e76c4e1, v13
	v_mul_f32_e32 v14, v11, v13
	v_sub_f32_e32 v12, v13, v12
	v_fmac_f32_e32 v10, v13, v9
	v_fma_f32 v9, v13, v11, -v14
	v_sub_f32_e32 v8, v8, v12
	v_fmac_f32_e32 v9, v13, v5
	v_mul_f32_e32 v12, v13, v10
	v_fmac_f32_e32 v9, v8, v11
	v_fma_f32 v13, v13, v10, -v12
	v_add_f32_e32 v15, v14, v9
	v_fmac_f32_e32 v13, v8, v10
	v_sub_f32_e32 v8, v15, v14
	v_add_f32_e32 v10, v12, v13
	v_sub_f32_e32 v8, v9, v8
	v_add_f32_e32 v9, 0x3f2aaaaa, v10
	v_sub_f32_e32 v12, v10, v12
	v_sub_f32_e32 v12, v13, v12
	v_add_f32_e32 v13, 0xbf2aaaaa, v9
	v_add_f32_e32 v12, 0x31739010, v12
	v_sub_f32_e32 v10, v10, v13
	v_subbrev_co_u32_e32 v7, vcc, 0, v7, vcc
	v_add_f32_e32 v10, v12, v10
	v_cvt_f32_i32_e32 v7, v7
	v_add_f32_e32 v12, v9, v10
	v_sub_f32_e32 v9, v9, v12
	v_mul_f32_e32 v13, v15, v12
	v_add_f32_e32 v9, v10, v9
	v_fma_f32 v10, v15, v12, -v13
	v_fmac_f32_e32 v10, v15, v9
	s_mov_b32 s1, 0x3f317218
	v_fmac_f32_e32 v10, v8, v12
	v_mul_f32_e32 v8, 0x3f317218, v7
	v_fma_f32 v9, v7, s1, -v8
	v_fmac_f32_e32 v9, 0xb102e308, v7
	v_ldexp_f32 v7, v11, 1
	v_add_f32_e32 v11, v8, v9
	v_sub_f32_e32 v8, v11, v8
	v_sub_f32_e32 v8, v9, v8
	v_add_f32_e32 v9, v13, v10
	v_sub_f32_e32 v12, v9, v13
	v_sub_f32_e32 v10, v10, v12
	v_add_f32_e32 v12, v7, v9
	v_ldexp_f32 v5, v5, 1
	v_sub_f32_e32 v7, v12, v7
	v_sub_f32_e32 v7, v9, v7
	v_add_f32_e32 v5, v5, v10
	v_add_f32_e32 v5, v5, v7
	;; [unrolled: 1-line block ×3, first 2 shown]
	v_sub_f32_e32 v9, v7, v12
	v_sub_f32_e32 v5, v5, v9
	v_add_f32_e32 v9, v11, v7
	v_sub_f32_e32 v10, v9, v11
	v_sub_f32_e32 v12, v9, v10
	;; [unrolled: 1-line block ×4, first 2 shown]
	v_add_f32_e32 v10, v8, v5
	v_add_f32_e32 v7, v7, v11
	v_sub_f32_e32 v11, v10, v8
	v_sub_f32_e32 v12, v10, v11
	;; [unrolled: 1-line block ×4, first 2 shown]
	v_add_f32_e32 v7, v10, v7
	v_add_f32_e32 v5, v5, v8
	;; [unrolled: 1-line block ×3, first 2 shown]
	v_sub_f32_e32 v9, v8, v9
	v_sub_f32_e32 v7, v7, v9
	v_add_f32_e32 v5, v5, v7
	v_add_f32_e32 v7, v8, v5
	v_sub_f32_e32 v8, v7, v8
	v_sub_f32_e32 v5, v5, v8
	v_mul_f32_e32 v8, v4, v7
	v_fma_f32 v7, v4, v7, -v8
	v_fmac_f32_e32 v7, v4, v5
	s_movk_i32 s6, 0x204
	v_add_f32_e32 v5, v8, v7
	v_cmp_class_f32_e64 vcc, v8, s6
	v_sub_f32_e32 v9, v5, v8
	v_cndmask_b32_e32 v5, v5, v8, vcc
	s_mov_b32 s1, 0x42b17218
	v_mov_b32_e32 v8, 0x37000000
	v_cmp_eq_f32_e32 vcc, s1, v5
	v_cndmask_b32_e32 v8, 0, v8, vcc
	v_sub_f32_e32 v7, v7, v9
	v_sub_f32_e32 v9, v5, v8
	s_mov_b32 s2, 0x3fb8aa3b
	v_mul_f32_e32 v10, 0x3fb8aa3b, v9
	v_fma_f32 v11, v9, s2, -v10
	v_rndne_f32_e32 v12, v10
	v_fmac_f32_e32 v11, 0x32a5705f, v9
	v_sub_f32_e32 v10, v10, v12
	v_add_f32_e32 v10, v10, v11
	v_exp_f32_e32 v10, v10
	v_cvt_i32_f32_e32 v11, v12
	s_mov_b32 s0, 0x7f800000
	v_cmp_neq_f32_e64 vcc, |v5|, s0
	s_mov_b32 s0, 0xc2ce8ed0
	v_cndmask_b32_e32 v5, 0, v7, vcc
	v_ldexp_f32 v7, v10, v11
	v_cmp_ngt_f32_e32 vcc, s0, v9
	v_add_f32_e32 v5, v8, v5
	v_cndmask_b32_e32 v7, 0, v7, vcc
	v_mov_b32_e32 v8, 0x7f800000
	v_cmp_nlt_f32_e32 vcc, s1, v9
	v_cndmask_b32_e32 v7, v8, v7, vcc
	v_fma_f32 v5, v7, v5, v7
	v_cmp_class_f32_e64 vcc, v7, s6
	v_cndmask_b32_e32 v5, v5, v7, vcc
	v_trunc_f32_e32 v7, v4
	v_cmp_eq_f32_e32 vcc, v7, v4
	v_mul_f32_e32 v7, 0.5, v4
	v_trunc_f32_e32 v10, v7
	v_cmp_neq_f32_e64 s[0:1], v10, v7
	s_and_b64 s[0:1], vcc, s[0:1]
	v_cndmask_b32_e64 v7, 1.0, v3, s[0:1]
	s_brev_b32 s9, -2
	v_mov_b32_e32 v9, 0x7fc00000
	v_bfi_b32 v5, s9, v5, v7
	v_cmp_neq_f32_e64 s[2:3], v4, |v4|
	v_cmp_lt_f32_e64 s[10:11], |v3|, 1.0
	v_cndmask_b32_e32 v7, v9, v5, vcc
	v_cmp_gt_f32_e32 vcc, 0, v3
	s_xor_b64 s[2:3], s[2:3], s[10:11]
	v_cndmask_b32_e32 v5, v5, v7, vcc
	v_cndmask_b32_e64 v7, v8, 0, s[2:3]
	v_cmp_neq_f32_e64 vcc, |v3|, 1.0
	v_cndmask_b32_e32 v7, 1.0, v7, vcc
	v_cmp_class_f32_e64 vcc, v4, s6
	v_cndmask_b32_e32 v5, v5, v7, vcc
	v_cmp_eq_f32_e32 vcc, 0, v3
	v_cmp_gt_f32_e64 s[2:3], 0, v4
	s_xor_b64 s[2:3], s[2:3], vcc
	s_waitcnt vmcnt(0)
	v_cvt_f32_i32_e32 v6, v6
	v_cmp_class_f32_e64 s[10:11], v3, s6
	v_cndmask_b32_e64 v4, v8, 0, s[2:3]
	v_cndmask_b32_e64 v7, 0, v3, s[0:1]
	v_bfi_b32 v4, s9, v4, v7
	s_or_b64 vcc, vcc, s[10:11]
	v_cndmask_b32_e32 v4, v5, v4, vcc
	v_cmp_o_f32_e32 vcc, v3, v3
	v_cndmask_b32_e32 v3, v9, v4, vcc
	v_mul_f32_e32 v7, v3, v6
.LBB6_33:
	s_or_b64 exec, exec, s[4:5]
	v_cmp_eq_f32_e64 s[0:1], s13, 0
	v_mul_f32_e32 v3, s12, v7
	s_and_b64 vcc, exec, s[0:1]
	s_cbranch_vccz .LBB6_19
.LBB6_34:
	v_mov_b32_e32 v4, s14
.LBB6_35:
	v_and_b32_e32 v5, 0x7fffffff, v3
	s_brev_b32 s0, 18
	v_cmp_nlt_f32_e64 s[8:9], |v3|, s0
	v_lshrrev_b32_e32 v2, 23, v5
                                        ; implicit-def: $vgpr7
                                        ; implicit-def: $vgpr6
	s_and_saveexec_b64 s[0:1], s[8:9]
	s_xor_b64 s[10:11], exec, s[0:1]
	s_cbranch_execz .LBB6_37
; %bb.36:
	v_and_b32_e32 v6, 0x7fffff, v5
	v_or_b32_e32 v15, 0x800000, v6
	s_mov_b32 s0, 0xfe5163ab
	v_mad_u64_u32 v[6:7], s[0:1], v15, s0, 0
	v_mov_b32_e32 v8, 0
	s_mov_b32 s0, 0x3c439041
	v_mad_u64_u32 v[9:10], s[0:1], v15, s0, v[7:8]
	s_mov_b32 s0, 0xdb629599
	v_add_u32_e32 v14, 0xffffff88, v2
	v_mov_b32_e32 v7, v10
	v_mad_u64_u32 v[10:11], s[0:1], v15, s0, v[7:8]
	s_mov_b32 s0, 0xf534ddc0
	v_not_b32_e32 v16, 63
	v_mov_b32_e32 v7, v11
	v_mad_u64_u32 v[11:12], s[0:1], v15, s0, v[7:8]
	s_mov_b32 s0, 0xfc2757d1
	v_cmp_lt_u32_e32 vcc, 63, v14
	v_mov_b32_e32 v7, v12
	v_mad_u64_u32 v[12:13], s[0:1], v15, s0, v[7:8]
	v_cndmask_b32_e32 v7, 0, v16, vcc
	v_add_u32_e32 v16, v7, v14
	v_mov_b32_e32 v7, v13
	s_mov_b32 s0, 0x4e441529
	v_mad_u64_u32 v[13:14], s[0:1], v15, s0, v[7:8]
	v_not_b32_e32 v17, 31
	v_cmp_lt_u32_e64 s[0:1], 31, v16
	v_cndmask_b32_e64 v7, 0, v17, s[0:1]
	v_add_u32_e32 v16, v7, v16
	v_mov_b32_e32 v7, v14
	s_mov_b32 s2, 0xa2f9836e
	v_mad_u64_u32 v[7:8], s[2:3], v15, s2, v[7:8]
	v_cmp_lt_u32_e64 s[2:3], 31, v16
	v_cndmask_b32_e64 v14, 0, v17, s[2:3]
	v_cndmask_b32_e32 v15, v13, v11, vcc
	v_cndmask_b32_e32 v7, v7, v12, vcc
	;; [unrolled: 1-line block ×3, first 2 shown]
	v_add_u32_e32 v14, v14, v16
	v_cndmask_b32_e64 v16, v7, v15, s[0:1]
	v_cndmask_b32_e64 v7, v8, v7, s[0:1]
	v_cndmask_b32_e32 v8, v12, v10, vcc
	v_cndmask_b32_e64 v12, v15, v8, s[0:1]
	v_cndmask_b32_e32 v9, v11, v9, vcc
	v_cndmask_b32_e64 v7, v7, v16, s[2:3]
	v_cndmask_b32_e64 v13, v16, v12, s[2:3]
	v_sub_u32_e32 v15, 32, v14
	v_cndmask_b32_e64 v8, v8, v9, s[0:1]
	v_alignbit_b32 v16, v7, v13, v15
	v_cmp_eq_u32_e64 s[4:5], 0, v14
	v_cndmask_b32_e64 v11, v12, v8, s[2:3]
	v_cndmask_b32_e64 v7, v16, v7, s[4:5]
	v_alignbit_b32 v12, v13, v11, v15
	v_cndmask_b32_e32 v6, v10, v6, vcc
	v_cndmask_b32_e64 v12, v12, v13, s[4:5]
	v_bfe_u32 v16, v7, 29, 1
	v_cndmask_b32_e64 v6, v9, v6, s[0:1]
	v_alignbit_b32 v13, v7, v12, 30
	v_sub_u32_e32 v17, 0, v16
	v_cndmask_b32_e64 v6, v8, v6, s[2:3]
	v_xor_b32_e32 v13, v13, v17
	v_alignbit_b32 v8, v11, v6, v15
	v_cndmask_b32_e64 v8, v8, v11, s[4:5]
	v_ffbh_u32_e32 v10, v13
	v_alignbit_b32 v9, v12, v8, 30
	v_min_u32_e32 v10, 32, v10
	v_alignbit_b32 v6, v8, v6, 30
	v_xor_b32_e32 v9, v9, v17
	v_sub_u32_e32 v11, 31, v10
	v_xor_b32_e32 v6, v6, v17
	v_alignbit_b32 v12, v13, v9, v11
	v_alignbit_b32 v6, v9, v6, v11
	;; [unrolled: 1-line block ×3, first 2 shown]
	v_ffbh_u32_e32 v9, v8
	v_min_u32_e32 v9, 32, v9
	v_lshrrev_b32_e32 v14, 29, v7
	v_not_b32_e32 v11, v9
	v_alignbit_b32 v6, v8, v6, v11
	v_lshlrev_b32_e32 v8, 31, v14
	v_or_b32_e32 v11, 0x33000000, v8
	v_add_lshl_u32 v9, v9, v10, 23
	v_lshrrev_b32_e32 v6, 9, v6
	v_sub_u32_e32 v9, v11, v9
	v_or_b32_e32 v8, 0.5, v8
	v_lshlrev_b32_e32 v10, 23, v10
	v_or_b32_e32 v6, v9, v6
	v_lshrrev_b32_e32 v9, 9, v12
	v_sub_u32_e32 v8, v8, v10
	v_or_b32_e32 v8, v9, v8
	s_mov_b32 s0, 0x3fc90fda
	v_mul_f32_e32 v9, 0x3fc90fda, v8
	v_fma_f32 v10, v8, s0, -v9
	v_fmac_f32_e32 v10, 0x33a22168, v8
	v_fmac_f32_e32 v10, 0x3fc90fda, v6
	v_lshrrev_b32_e32 v7, 30, v7
	v_add_f32_e32 v6, v9, v10
	v_add_u32_e32 v7, v16, v7
	s_andn2_saveexec_b64 s[0:1], s[10:11]
	s_cbranch_execz .LBB6_39
	s_branch .LBB6_38
.LBB6_37:
	s_andn2_saveexec_b64 s[0:1], s[10:11]
	s_cbranch_execz .LBB6_39
.LBB6_38:
	s_mov_b32 s2, 0x3f22f983
	v_mul_f32_e64 v6, |v3|, s2
	v_rndne_f32_e32 v8, v6
	s_mov_b32 s2, 0xbfc90fda
	v_cvt_i32_f32_e32 v7, v8
	v_fma_f32 v6, v8, s2, |v3|
	v_fmac_f32_e32 v6, 0xb3a22168, v8
	v_fmac_f32_e32 v6, 0xa7c234c4, v8
.LBB6_39:
	s_or_b64 exec, exec, s[0:1]
                                        ; implicit-def: $vgpr9
                                        ; implicit-def: $vgpr8
	s_and_saveexec_b64 s[0:1], s[8:9]
	s_xor_b64 s[8:9], exec, s[0:1]
	s_cbranch_execz .LBB6_41
; %bb.40:
	v_and_b32_e32 v8, 0x7fffff, v5
	v_or_b32_e32 v17, 0x800000, v8
	s_mov_b32 s0, 0xfe5163ab
	v_mad_u64_u32 v[8:9], s[0:1], v17, s0, 0
	v_mov_b32_e32 v10, 0
	s_mov_b32 s0, 0x3c439041
	v_mad_u64_u32 v[11:12], s[0:1], v17, s0, v[9:10]
	s_mov_b32 s0, 0xdb629599
	v_add_u32_e32 v2, 0xffffff88, v2
	v_mov_b32_e32 v9, v12
	v_mad_u64_u32 v[12:13], s[0:1], v17, s0, v[9:10]
	s_mov_b32 s0, 0xf534ddc0
	v_not_b32_e32 v16, 63
	v_mov_b32_e32 v9, v13
	v_mad_u64_u32 v[13:14], s[0:1], v17, s0, v[9:10]
	s_mov_b32 s0, 0xfc2757d1
	v_cmp_lt_u32_e32 vcc, 63, v2
	v_mov_b32_e32 v9, v14
	v_mad_u64_u32 v[14:15], s[0:1], v17, s0, v[9:10]
	v_cndmask_b32_e32 v9, 0, v16, vcc
	v_add_u32_e32 v2, v9, v2
	v_mov_b32_e32 v9, v15
	s_mov_b32 s0, 0x4e441529
	v_mad_u64_u32 v[15:16], s[0:1], v17, s0, v[9:10]
	v_not_b32_e32 v18, 31
	v_cmp_lt_u32_e64 s[0:1], 31, v2
	v_cndmask_b32_e64 v9, 0, v18, s[0:1]
	v_add_u32_e32 v2, v9, v2
	v_mov_b32_e32 v9, v16
	s_mov_b32 s2, 0xa2f9836e
	v_mad_u64_u32 v[9:10], s[2:3], v17, s2, v[9:10]
	v_cmp_lt_u32_e64 s[2:3], 31, v2
	v_cndmask_b32_e64 v16, 0, v18, s[2:3]
	v_add_u32_e32 v2, v16, v2
	v_cndmask_b32_e32 v16, v15, v13, vcc
	v_cndmask_b32_e32 v9, v9, v14, vcc
	;; [unrolled: 1-line block ×3, first 2 shown]
	v_cndmask_b32_e64 v17, v9, v16, s[0:1]
	v_cndmask_b32_e64 v9, v10, v9, s[0:1]
	v_cndmask_b32_e32 v10, v14, v12, vcc
	v_cndmask_b32_e64 v14, v16, v10, s[0:1]
	v_cndmask_b32_e64 v9, v9, v17, s[2:3]
	;; [unrolled: 1-line block ×3, first 2 shown]
	v_sub_u32_e32 v16, 32, v2
	v_alignbit_b32 v17, v9, v15, v16
	v_cmp_eq_u32_e64 s[4:5], 0, v2
	v_cndmask_b32_e64 v2, v17, v9, s[4:5]
	v_cndmask_b32_e32 v9, v13, v11, vcc
	v_cndmask_b32_e64 v10, v10, v9, s[0:1]
	v_cndmask_b32_e64 v11, v14, v10, s[2:3]
	v_alignbit_b32 v13, v15, v11, v16
	v_cndmask_b32_e32 v8, v12, v8, vcc
	v_cndmask_b32_e64 v13, v13, v15, s[4:5]
	v_bfe_u32 v17, v2, 29, 1
	v_cndmask_b32_e64 v8, v9, v8, s[0:1]
	v_alignbit_b32 v14, v2, v13, 30
	v_sub_u32_e32 v18, 0, v17
	v_cndmask_b32_e64 v8, v10, v8, s[2:3]
	v_xor_b32_e32 v14, v14, v18
	v_alignbit_b32 v9, v11, v8, v16
	v_cndmask_b32_e64 v9, v9, v11, s[4:5]
	v_ffbh_u32_e32 v11, v14
	v_alignbit_b32 v10, v13, v9, 30
	v_min_u32_e32 v11, 32, v11
	v_alignbit_b32 v8, v9, v8, 30
	v_xor_b32_e32 v10, v10, v18
	v_sub_u32_e32 v12, 31, v11
	v_xor_b32_e32 v8, v8, v18
	v_alignbit_b32 v13, v14, v10, v12
	v_alignbit_b32 v8, v10, v8, v12
	;; [unrolled: 1-line block ×3, first 2 shown]
	v_ffbh_u32_e32 v10, v9
	v_min_u32_e32 v10, 32, v10
	v_lshrrev_b32_e32 v15, 29, v2
	v_not_b32_e32 v12, v10
	v_alignbit_b32 v8, v9, v8, v12
	v_lshlrev_b32_e32 v9, 31, v15
	v_or_b32_e32 v12, 0x33000000, v9
	v_add_lshl_u32 v10, v10, v11, 23
	v_lshrrev_b32_e32 v8, 9, v8
	v_sub_u32_e32 v10, v12, v10
	v_or_b32_e32 v9, 0.5, v9
	v_lshlrev_b32_e32 v11, 23, v11
	v_or_b32_e32 v8, v10, v8
	v_lshrrev_b32_e32 v10, 9, v13
	v_sub_u32_e32 v9, v9, v11
	v_or_b32_e32 v9, v10, v9
	s_mov_b32 s0, 0x3fc90fda
	v_mul_f32_e32 v10, 0x3fc90fda, v9
	v_fma_f32 v11, v9, s0, -v10
	v_fmac_f32_e32 v11, 0x33a22168, v9
	v_fmac_f32_e32 v11, 0x3fc90fda, v8
	v_lshrrev_b32_e32 v2, 30, v2
	v_add_f32_e32 v8, v10, v11
	v_add_u32_e32 v9, v17, v2
	s_andn2_saveexec_b64 s[0:1], s[8:9]
	s_cbranch_execnz .LBB6_42
	s_branch .LBB6_43
.LBB6_41:
	s_andn2_saveexec_b64 s[0:1], s[8:9]
	s_cbranch_execz .LBB6_43
.LBB6_42:
	s_mov_b32 s2, 0x3f22f983
	v_mul_f32_e64 v2, |v3|, s2
	v_rndne_f32_e32 v2, v2
	s_mov_b32 s2, 0xbfc90fda
	v_cvt_i32_f32_e32 v9, v2
	v_fma_f32 v8, v2, s2, |v3|
	v_fmac_f32_e32 v8, 0xb3a22168, v2
	v_fmac_f32_e32 v8, 0xa7c234c4, v2
.LBB6_43:
	s_or_b64 exec, exec, s[0:1]
	v_ashrrev_i32_e32 v2, 31, v1
	s_lshr_b32 s0, s7, 31
	v_lshlrev_b64 v[1:2], 2, v[1:2]
	s_add_i32 s0, s7, s0
	s_ashr_i32 s0, s0, 1
	v_mov_b32_e32 v10, s17
	v_add_co_u32_e32 v1, vcc, s16, v1
	s_ashr_i32 s1, s0, 31
	v_addc_co_u32_e32 v2, vcc, v10, v2, vcc
	s_lshl_b64 s[0:1], s[0:1], 2
	v_mov_b32_e32 v12, s1
	v_add_co_u32_e32 v10, vcc, s0, v1
	v_addc_co_u32_e32 v11, vcc, v2, v12, vcc
	global_load_dword v13, v[1:2], off
	global_load_dword v14, v[10:11], off
	v_ashrrev_i32_e32 v1, 31, v0
	v_lshlrev_b64 v[0:1], 2, v[0:1]
	v_mov_b32_e32 v17, s19
	v_add_co_u32_e32 v0, vcc, s18, v0
	v_mul_f32_e32 v2, v6, v6
	v_mov_b32_e32 v16, 0xbab64f3b
	v_addc_co_u32_e32 v1, vcc, v17, v1, vcc
	v_mov_b32_e32 v17, 0xbab64f3b
	v_mul_f32_e32 v19, v8, v8
	v_mov_b32_e32 v10, 0x3c0881c4
	v_mov_b32_e32 v11, 0x3c0881c4
	;; [unrolled: 1-line block ×3, first 2 shown]
	v_fmac_f32_e32 v17, 0x37d75334, v2
	v_fmac_f32_e32 v16, 0x37d75334, v19
	v_mov_b32_e32 v15, 0xbe2aaa9d
	v_fmac_f32_e32 v11, 0xb94c1982, v2
	v_fmac_f32_e32 v10, 0xb94c1982, v19
	v_fma_f32 v17, v2, v17, v18
	v_fmac_f32_e32 v18, v19, v16
	v_lshlrev_b32_e32 v16, 30, v9
	v_fma_f32 v11, v2, v11, v15
	v_fmac_f32_e32 v15, v19, v10
	v_mov_b32_e32 v10, 0xbf000004
	v_xor_b32_e32 v5, v5, v3
	v_and_b32_e32 v16, 0x80000000, v16
	v_xor_b32_e32 v5, v5, v16
	v_and_b32_e32 v16, 1, v7
	v_fma_f32 v17, v2, v17, v10
	v_mul_f32_e32 v11, v2, v11
	v_fmac_f32_e32 v10, v19, v18
	v_and_b32_e32 v9, 1, v9
	v_mul_f32_e32 v15, v19, v15
	v_fmac_f32_e32 v6, v6, v11
	v_fma_f32 v2, v2, v17, 1.0
	v_cmp_eq_u32_e32 vcc, 0, v16
	v_lshlrev_b32_e32 v7, 30, v7
	v_fmac_f32_e32 v8, v8, v15
	v_fma_f32 v10, v19, v10, 1.0
	v_cndmask_b32_e64 v2, -v6, v2, vcc
	v_cmp_eq_u32_e32 vcc, 0, v9
	v_and_b32_e32 v7, 0x80000000, v7
	v_cndmask_b32_e32 v6, v10, v8, vcc
	v_xor_b32_e32 v2, v7, v2
	v_xor_b32_e32 v7, v5, v6
	v_add_co_u32_e32 v5, vcc, s0, v0
	s_movk_i32 s1, 0x1f8
	v_addc_co_u32_e32 v6, vcc, v1, v12, vcc
	v_mov_b32_e32 v18, 0x7fc00000
	v_cmp_class_f32_e64 vcc, v3, s1
	v_cndmask_b32_e32 v3, v18, v7, vcc
	v_cndmask_b32_e32 v2, v18, v2, vcc
	v_mul_f32_e32 v3, v4, v3
	v_mul_f32_e32 v2, v4, v2
	s_waitcnt vmcnt(1)
	v_mul_f32_e32 v4, v13, v3
	s_waitcnt vmcnt(0)
	v_mul_f32_e32 v3, v14, v3
	v_fmac_f32_e32 v4, v2, v14
	v_fma_f32 v2, v2, v13, -v3
	global_store_dword v[0:1], v2, off
	global_store_dword v[5:6], v4, off
.LBB6_44:
	s_endpgm
	.section	.rodata,"a",@progbits
	.p2align	6, 0x0
	.amdhsa_kernel _ZL10rope_multiILb1ELb0EfEvPKT1_PS0_iiiiiiiiiiPKifff14rope_corr_dimsfPKf14mrope_sectionsb
		.amdhsa_group_segment_fixed_size 0
		.amdhsa_private_segment_fixed_size 0
		.amdhsa_kernarg_size 376
		.amdhsa_user_sgpr_count 6
		.amdhsa_user_sgpr_private_segment_buffer 1
		.amdhsa_user_sgpr_dispatch_ptr 0
		.amdhsa_user_sgpr_queue_ptr 0
		.amdhsa_user_sgpr_kernarg_segment_ptr 1
		.amdhsa_user_sgpr_dispatch_id 0
		.amdhsa_user_sgpr_flat_scratch_init 0
		.amdhsa_user_sgpr_private_segment_size 0
		.amdhsa_uses_dynamic_stack 0
		.amdhsa_system_sgpr_private_segment_wavefront_offset 0
		.amdhsa_system_sgpr_workgroup_id_x 1
		.amdhsa_system_sgpr_workgroup_id_y 1
		.amdhsa_system_sgpr_workgroup_id_z 0
		.amdhsa_system_sgpr_workgroup_info 0
		.amdhsa_system_vgpr_workitem_id 1
		.amdhsa_next_free_vgpr 20
		.amdhsa_next_free_sgpr 32
		.amdhsa_reserve_vcc 1
		.amdhsa_reserve_flat_scratch 0
		.amdhsa_float_round_mode_32 0
		.amdhsa_float_round_mode_16_64 0
		.amdhsa_float_denorm_mode_32 3
		.amdhsa_float_denorm_mode_16_64 3
		.amdhsa_dx10_clamp 1
		.amdhsa_ieee_mode 1
		.amdhsa_fp16_overflow 0
		.amdhsa_exception_fp_ieee_invalid_op 0
		.amdhsa_exception_fp_denorm_src 0
		.amdhsa_exception_fp_ieee_div_zero 0
		.amdhsa_exception_fp_ieee_overflow 0
		.amdhsa_exception_fp_ieee_underflow 0
		.amdhsa_exception_fp_ieee_inexact 0
		.amdhsa_exception_int_div_zero 0
	.end_amdhsa_kernel
	.section	.text._ZL10rope_multiILb1ELb0EfEvPKT1_PS0_iiiiiiiiiiPKifff14rope_corr_dimsfPKf14mrope_sectionsb,"axG",@progbits,_ZL10rope_multiILb1ELb0EfEvPKT1_PS0_iiiiiiiiiiPKifff14rope_corr_dimsfPKf14mrope_sectionsb,comdat
.Lfunc_end6:
	.size	_ZL10rope_multiILb1ELb0EfEvPKT1_PS0_iiiiiiiiiiPKifff14rope_corr_dimsfPKf14mrope_sectionsb, .Lfunc_end6-_ZL10rope_multiILb1ELb0EfEvPKT1_PS0_iiiiiiiiiiPKifff14rope_corr_dimsfPKf14mrope_sectionsb
                                        ; -- End function
	.set _ZL10rope_multiILb1ELb0EfEvPKT1_PS0_iiiiiiiiiiPKifff14rope_corr_dimsfPKf14mrope_sectionsb.num_vgpr, 20
	.set _ZL10rope_multiILb1ELb0EfEvPKT1_PS0_iiiiiiiiiiPKifff14rope_corr_dimsfPKf14mrope_sectionsb.num_agpr, 0
	.set _ZL10rope_multiILb1ELb0EfEvPKT1_PS0_iiiiiiiiiiPKifff14rope_corr_dimsfPKf14mrope_sectionsb.numbered_sgpr, 32
	.set _ZL10rope_multiILb1ELb0EfEvPKT1_PS0_iiiiiiiiiiPKifff14rope_corr_dimsfPKf14mrope_sectionsb.num_named_barrier, 0
	.set _ZL10rope_multiILb1ELb0EfEvPKT1_PS0_iiiiiiiiiiPKifff14rope_corr_dimsfPKf14mrope_sectionsb.private_seg_size, 0
	.set _ZL10rope_multiILb1ELb0EfEvPKT1_PS0_iiiiiiiiiiPKifff14rope_corr_dimsfPKf14mrope_sectionsb.uses_vcc, 1
	.set _ZL10rope_multiILb1ELb0EfEvPKT1_PS0_iiiiiiiiiiPKifff14rope_corr_dimsfPKf14mrope_sectionsb.uses_flat_scratch, 0
	.set _ZL10rope_multiILb1ELb0EfEvPKT1_PS0_iiiiiiiiiiPKifff14rope_corr_dimsfPKf14mrope_sectionsb.has_dyn_sized_stack, 0
	.set _ZL10rope_multiILb1ELb0EfEvPKT1_PS0_iiiiiiiiiiPKifff14rope_corr_dimsfPKf14mrope_sectionsb.has_recursion, 0
	.set _ZL10rope_multiILb1ELb0EfEvPKT1_PS0_iiiiiiiiiiPKifff14rope_corr_dimsfPKf14mrope_sectionsb.has_indirect_call, 0
	.section	.AMDGPU.csdata,"",@progbits
; Kernel info:
; codeLenInByte = 10172
; TotalNumSgprs: 36
; NumVgprs: 20
; ScratchSize: 0
; MemoryBound: 0
; FloatMode: 240
; IeeeMode: 1
; LDSByteSize: 0 bytes/workgroup (compile time only)
; SGPRBlocks: 4
; VGPRBlocks: 4
; NumSGPRsForWavesPerEU: 36
; NumVGPRsForWavesPerEU: 20
; Occupancy: 10
; WaveLimiterHint : 0
; COMPUTE_PGM_RSRC2:SCRATCH_EN: 0
; COMPUTE_PGM_RSRC2:USER_SGPR: 6
; COMPUTE_PGM_RSRC2:TRAP_HANDLER: 0
; COMPUTE_PGM_RSRC2:TGID_X_EN: 1
; COMPUTE_PGM_RSRC2:TGID_Y_EN: 1
; COMPUTE_PGM_RSRC2:TGID_Z_EN: 0
; COMPUTE_PGM_RSRC2:TIDIG_COMP_CNT: 1
	.section	.text._ZL10rope_multiILb1ELb1EfEvPKT1_PS0_iiiiiiiiiiPKifff14rope_corr_dimsfPKf14mrope_sectionsb,"axG",@progbits,_ZL10rope_multiILb1ELb1EfEvPKT1_PS0_iiiiiiiiiiPKifff14rope_corr_dimsfPKf14mrope_sectionsb,comdat
	.globl	_ZL10rope_multiILb1ELb1EfEvPKT1_PS0_iiiiiiiiiiPKifff14rope_corr_dimsfPKf14mrope_sectionsb ; -- Begin function _ZL10rope_multiILb1ELb1EfEvPKT1_PS0_iiiiiiiiiiPKifff14rope_corr_dimsfPKf14mrope_sectionsb
	.p2align	8
	.type	_ZL10rope_multiILb1ELb1EfEvPKT1_PS0_iiiiiiiiiiPKifff14rope_corr_dimsfPKf14mrope_sectionsb,@function
_ZL10rope_multiILb1ELb1EfEvPKT1_PS0_iiiiiiiiiiPKifff14rope_corr_dimsfPKf14mrope_sectionsb: ; @_ZL10rope_multiILb1ELb1EfEvPKT1_PS0_iiiiiiiiiiPKifff14rope_corr_dimsfPKf14mrope_sectionsb
; %bb.0:
	s_load_dword s2, s[4:5], 0x84
	s_load_dwordx8 s[8:15], s[4:5], 0x10
	s_add_u32 s0, s4, 0x78
	s_addc_u32 s1, s5, 0
	s_waitcnt lgkmcnt(0)
	s_lshr_b32 s2, s2, 16
	s_mul_i32 s7, s7, s2
	v_add_lshl_u32 v6, s7, v1, 1
	v_cmp_gt_i32_e32 vcc, s8, v6
	s_and_saveexec_b64 s[2:3], vcc
	s_cbranch_execz .LBB7_44
; %bb.1:
	s_mul_i32 s2, s10, s9
	s_abs_i32 s3, s2
	v_cvt_f32_u32_e32 v1, s3
	s_load_dword s0, s[0:1], 0xc
	s_sub_i32 s1, 0, s3
	v_cvt_f32_u32_e32 v2, s9
	v_rcp_iflag_f32_e32 v1, v1
	s_load_dwordx2 s[24:25], s[4:5], 0x30
	s_load_dwordx4 s[16:19], s[4:5], 0x0
	s_waitcnt lgkmcnt(0)
	s_and_b32 s0, s0, 0xffff
	s_mul_i32 s6, s6, s0
	v_mul_f32_e32 v1, 0x4f7ffffe, v1
	v_cvt_u32_f32_e32 v1, v1
	v_add_u32_e32 v0, s6, v0
	v_sub_u32_e32 v4, 0, v0
	v_max_i32_e32 v4, v0, v4
	v_mul_lo_u32 v3, s1, v1
	v_rcp_iflag_f32_e32 v2, v2
	s_sub_i32 s0, 0, s9
	v_xor_b32_e32 v5, s2, v0
	v_mul_hi_u32 v3, v1, v3
	v_mul_f32_e32 v2, 0x4f7ffffe, v2
	v_cvt_u32_f32_e32 v2, v2
	v_ashrrev_i32_e32 v5, 31, v5
	v_add_u32_e32 v1, v1, v3
	v_mul_hi_u32 v1, v4, v1
	v_mul_lo_u32 v3, s0, v2
	v_mul_lo_u32 v7, v1, s3
	v_add_u32_e32 v8, 1, v1
	v_mul_hi_u32 v3, v2, v3
	v_sub_u32_e32 v4, v4, v7
	v_cmp_le_u32_e32 vcc, s3, v4
	v_subrev_u32_e32 v7, s3, v4
	v_cndmask_b32_e32 v1, v1, v8, vcc
	v_cndmask_b32_e32 v4, v4, v7, vcc
	v_add_u32_e32 v7, 1, v1
	v_cmp_le_u32_e32 vcc, s3, v4
	v_cndmask_b32_e32 v1, v1, v7, vcc
	v_xor_b32_e32 v1, v1, v5
	v_sub_u32_e32 v5, v1, v5
	v_mul_lo_u32 v1, s2, v5
	v_add_u32_e32 v2, v2, v3
	v_sub_u32_e32 v3, v0, v1
	v_mul_hi_u32 v0, v3, v2
	v_ashrrev_i32_e32 v2, 1, v6
	v_mul_lo_u32 v1, v0, s9
	v_add_u32_e32 v4, 1, v0
	v_sub_u32_e32 v1, v3, v1
	v_cmp_le_u32_e32 vcc, s9, v1
	v_cndmask_b32_e32 v0, v0, v4, vcc
	v_subrev_u32_e32 v4, s9, v1
	v_cndmask_b32_e32 v1, v1, v4, vcc
	v_add_u32_e32 v4, 1, v0
	v_cmp_le_u32_e32 vcc, s9, v1
	v_cndmask_b32_e32 v4, v0, v4, vcc
	v_mul_lo_u32 v7, v4, s9
	v_mad_u64_u32 v[0:1], s[0:1], v5, s24, v[2:3]
	v_mul_lo_u32 v1, v4, s15
	v_sub_u32_e32 v3, v3, v7
	v_mul_lo_u32 v9, v3, s14
	v_mul_lo_u32 v3, v3, s11
	;; [unrolled: 1-line block ×3, first 2 shown]
	v_cmp_le_i32_e32 vcc, s25, v6
	v_add3_u32 v0, v0, v1, v9
	v_mad_u64_u32 v[7:8], s[0:1], v5, s13, v[2:3]
	v_add3_u32 v1, v7, v10, v3
	s_and_saveexec_b64 s[0:1], vcc
	s_xor_b64 s[0:1], exec, s[0:1]
	s_cbranch_execz .LBB7_3
; %bb.2:
	v_add_u32_e32 v3, v1, v2
	v_ashrrev_i32_e32 v4, 31, v3
	v_lshlrev_b64 v[3:4], 2, v[3:4]
	v_mov_b32_e32 v1, s17
	v_add_co_u32_e32 v3, vcc, s16, v3
	v_addc_co_u32_e32 v4, vcc, v1, v4, vcc
	global_load_dword v5, v[3:4], off
	v_add_u32_e32 v0, v0, v2
	v_ashrrev_i32_e32 v1, 31, v0
	v_lshlrev_b64 v[0:1], 2, v[0:1]
	v_mov_b32_e32 v2, s19
	v_add_co_u32_e32 v0, vcc, s18, v0
	v_addc_co_u32_e32 v1, vcc, v2, v1, vcc
                                        ; implicit-def: $vgpr6
	s_waitcnt vmcnt(0)
	global_store_dword v[0:1], v5, off
	global_load_dword v2, v[3:4], off offset:4
                                        ; implicit-def: $vgpr4
	s_waitcnt vmcnt(0)
	global_store_dword v[0:1], v2, off offset:4
                                        ; implicit-def: $vgpr1
                                        ; implicit-def: $vgpr0
                                        ; implicit-def: $vgpr2
.LBB7_3:
	s_andn2_saveexec_b64 s[0:1], s[0:1]
	s_cbranch_execz .LBB7_44
; %bb.4:
	s_load_dwordx4 s[20:23], s[4:5], 0x60
	s_load_dwordx2 s[8:9], s[4:5], 0x50
	v_sub_u32_e32 v7, 0, v2
	v_max_i32_e32 v7, v2, v7
	s_waitcnt lgkmcnt(0)
	s_add_i32 s1, s21, s20
	s_add_i32 s0, s1, s22
	;; [unrolled: 1-line block ×3, first 2 shown]
	s_abs_i32 s2, s2
	v_cvt_f32_u32_e32 v3, s2
	s_sub_i32 s3, 0, s2
	v_rcp_iflag_f32_e32 v3, v3
	v_mul_f32_e32 v3, 0x4f7ffffe, v3
	v_cvt_u32_f32_e32 v3, v3
	v_mul_lo_u32 v5, s3, v3
	s_load_dword s3, s[4:5], 0x70
	s_load_dwordx2 s[26:27], s[4:5], 0x38
	s_load_dwordx4 s[12:15], s[4:5], 0x40
	s_waitcnt lgkmcnt(0)
	s_and_b32 s3, s3, 1
	v_mul_hi_u32 v5, v3, v5
	s_cmp_eq_u32 s3, 0
	v_add_u32_e32 v3, v3, v5
	v_mul_hi_u32 v3, v7, v3
	v_mul_lo_u32 v5, v3, s2
	v_ashrrev_i32_e32 v3, 31, v2
	v_sub_u32_e32 v5, v7, v5
	v_subrev_u32_e32 v7, s2, v5
	v_cmp_le_u32_e32 vcc, s2, v5
	v_cndmask_b32_e32 v5, v5, v7, vcc
	v_subrev_u32_e32 v7, s2, v5
	v_cmp_le_u32_e32 vcc, s2, v5
	v_cndmask_b32_e32 v5, v5, v7, vcc
	v_xor_b32_e32 v5, v5, v3
	v_sub_u32_e32 v7, v5, v3
	s_cbranch_scc0 .LBB7_18
; %bb.5:
	v_cmp_le_i32_e32 vcc, s20, v7
                                        ; implicit-def: $vgpr5
	s_and_saveexec_b64 s[2:3], vcc
	s_xor_b64 s[28:29], exec, s[2:3]
	s_cbranch_execz .LBB7_15
; %bb.6:
	v_cmp_le_i32_e32 vcc, s1, v7
                                        ; implicit-def: $vgpr5
	s_and_saveexec_b64 s[2:3], vcc
	s_xor_b64 s[30:31], exec, s[2:3]
	s_cbranch_execz .LBB7_12
; %bb.7:
	v_cvt_f32_i32_e32 v5, v6
	v_cmp_le_i32_e32 vcc, s0, v7
	v_cmp_neq_f32_e64 s[0:1], s9, 1.0
	v_mov_b32_e32 v9, s9
	v_mul_f32_e32 v5, 0.5, v5
	v_cndmask_b32_e64 v8, 1.0, v5, s[0:1]
	v_cmp_neq_f32_e64 s[0:1], 0, v8
	v_cndmask_b32_e64 v5, 1.0, v9, s[0:1]
	v_frexp_mant_f32_e64 v9, |v5|
	s_mov_b32 s0, 0x3f2aaaab
	v_cmp_gt_f32_e64 s[0:1], s0, v9
	v_cndmask_b32_e64 v10, 1.0, 2.0, s[0:1]
	v_mul_f32_e32 v9, v9, v10
	v_add_f32_e32 v10, 1.0, v9
	v_rcp_f32_e32 v11, v10
	v_add_f32_e32 v12, -1.0, v9
	v_add_f32_e32 v13, -1.0, v10
	v_sub_f32_e32 v9, v9, v13
	v_mul_f32_e32 v13, v12, v11
	v_mul_f32_e32 v14, v10, v13
	v_fma_f32 v10, v13, v10, -v14
	v_fmac_f32_e32 v10, v13, v9
	v_add_f32_e32 v9, v14, v10
	v_sub_f32_e32 v15, v12, v9
	v_sub_f32_e32 v14, v9, v14
	;; [unrolled: 1-line block ×5, first 2 shown]
	v_add_f32_e32 v9, v10, v9
	v_add_f32_e32 v9, v15, v9
	v_mul_f32_e32 v9, v11, v9
	v_add_f32_e32 v11, v13, v9
	v_sub_f32_e32 v10, v11, v13
	v_sub_f32_e32 v12, v9, v10
	v_mul_f32_e32 v9, v11, v11
	v_fma_f32 v10, v11, v11, -v9
	v_add_f32_e32 v13, v12, v12
	v_fmac_f32_e32 v10, v11, v13
	v_add_f32_e32 v13, v9, v10
	v_mov_b32_e32 v14, 0x3e91f4c4
	v_sub_f32_e32 v9, v13, v9
	v_fmac_f32_e32 v14, 0x3e76c4e1, v13
	v_mov_b32_e32 v15, 0x3ecccdef
	v_sub_f32_e32 v9, v10, v9
	v_mul_f32_e32 v10, v11, v13
	v_fmac_f32_e32 v15, v13, v14
	v_fma_f32 v14, v13, v11, -v10
	v_fmac_f32_e32 v14, v13, v12
	v_fmac_f32_e32 v14, v9, v11
	v_add_f32_e32 v16, v10, v14
	v_sub_f32_e32 v10, v16, v10
	v_sub_f32_e32 v14, v14, v10
	v_mul_f32_e32 v10, v13, v15
	v_fma_f32 v13, v13, v15, -v10
	v_fmac_f32_e32 v13, v9, v15
	v_add_f32_e32 v15, v10, v13
	v_sub_f32_e32 v9, v15, v10
	v_sub_f32_e32 v13, v13, v9
	v_cvt_f64_f32_e64 v[9:10], |v5|
	v_add_f32_e32 v17, 0x3f2aaaaa, v15
	v_add_f32_e32 v18, 0xbf2aaaaa, v17
	;; [unrolled: 1-line block ×3, first 2 shown]
	v_frexp_exp_i32_f64_e32 v9, v[9:10]
	v_sub_f32_e32 v15, v15, v18
	v_add_f32_e32 v10, v13, v15
	v_add_f32_e32 v13, v17, v10
	v_sub_f32_e32 v15, v17, v13
	v_add_f32_e32 v10, v10, v15
	v_mul_f32_e32 v15, v16, v13
	v_fma_f32 v17, v16, v13, -v15
	v_subbrev_co_u32_e64 v9, s[0:1], 0, v9, s[0:1]
	v_cvt_f32_i32_e32 v9, v9
	v_fmac_f32_e32 v17, v16, v10
	s_mov_b32 s0, 0x3f317218
	v_fmac_f32_e32 v17, v14, v13
	v_mul_f32_e32 v10, 0x3f317218, v9
	v_fma_f32 v13, v9, s0, -v10
	v_fmac_f32_e32 v13, 0xb102e308, v9
	v_ldexp_f32 v9, v12, 1
	v_add_f32_e32 v12, v10, v13
	v_sub_f32_e32 v10, v12, v10
	v_ldexp_f32 v11, v11, 1
	v_sub_f32_e32 v10, v13, v10
	v_add_f32_e32 v13, v15, v17
	v_sub_f32_e32 v14, v13, v15
	v_add_f32_e32 v15, v11, v13
	v_sub_f32_e32 v14, v17, v14
	v_sub_f32_e32 v11, v15, v11
	;; [unrolled: 1-line block ×3, first 2 shown]
	v_add_f32_e32 v9, v9, v14
	v_add_f32_e32 v9, v9, v11
	;; [unrolled: 1-line block ×3, first 2 shown]
	v_sub_f32_e32 v13, v11, v15
	v_sub_f32_e32 v9, v9, v13
	v_add_f32_e32 v13, v12, v11
	v_sub_f32_e32 v14, v13, v12
	v_sub_f32_e32 v15, v13, v14
	;; [unrolled: 1-line block ×4, first 2 shown]
	v_add_f32_e32 v11, v11, v12
	v_add_f32_e32 v12, v10, v9
	v_sub_f32_e32 v14, v12, v10
	v_sub_f32_e32 v15, v12, v14
	v_sub_f32_e32 v10, v10, v15
	v_sub_f32_e32 v9, v9, v14
	v_add_f32_e32 v9, v9, v10
	v_add_f32_e32 v10, v12, v11
	;; [unrolled: 1-line block ×3, first 2 shown]
	v_sub_f32_e32 v12, v11, v13
	v_sub_f32_e32 v10, v10, v12
	v_add_f32_e32 v9, v9, v10
	v_add_f32_e32 v10, v11, v9
	v_sub_f32_e32 v11, v10, v11
	v_sub_f32_e32 v9, v9, v11
	v_mul_f32_e32 v11, v8, v10
	v_fma_f32 v10, v8, v10, -v11
	v_fmac_f32_e32 v10, v8, v9
	s_movk_i32 s11, 0x204
	v_add_f32_e32 v9, v11, v10
	v_cmp_class_f32_e64 s[0:1], v11, s11
	v_sub_f32_e32 v12, v9, v11
	v_cndmask_b32_e64 v9, v9, v11, s[0:1]
	s_mov_b32 s3, 0x42b17218
	v_mov_b32_e32 v11, 0x37000000
	v_cmp_eq_f32_e64 s[0:1], s3, v9
	v_cndmask_b32_e64 v11, 0, v11, s[0:1]
	v_sub_f32_e32 v10, v10, v12
	v_sub_f32_e32 v12, v9, v11
	s_mov_b32 s0, 0x3fb8aa3b
	v_mul_f32_e32 v13, 0x3fb8aa3b, v12
	v_fma_f32 v14, v12, s0, -v13
	v_rndne_f32_e32 v15, v13
	v_fmac_f32_e32 v14, 0x32a5705f, v12
	v_sub_f32_e32 v13, v13, v15
	v_add_f32_e32 v13, v13, v14
	v_exp_f32_e32 v13, v13
	v_cvt_i32_f32_e32 v14, v15
	s_mov_b32 s2, 0x7f800000
	v_cmp_neq_f32_e64 s[0:1], |v9|, s2
	v_cndmask_b32_e64 v9, 0, v10, s[0:1]
	s_mov_b32 s0, 0xc2ce8ed0
	v_ldexp_f32 v10, v13, v14
	v_cmp_ngt_f32_e64 s[0:1], s0, v12
	v_add_f32_e32 v9, v11, v9
	v_cndmask_b32_e64 v10, 0, v10, s[0:1]
	v_mov_b32_e32 v11, 0x7f800000
	v_cmp_nlt_f32_e64 s[0:1], s3, v12
	v_cndmask_b32_e64 v10, v11, v10, s[0:1]
	v_fma_f32 v9, v10, v9, v10
	v_cmp_class_f32_e64 s[0:1], v10, s11
	v_cndmask_b32_e64 v9, v9, v10, s[0:1]
	v_trunc_f32_e32 v10, v8
	v_cmp_eq_f32_e64 s[0:1], v10, v8
	v_mul_f32_e32 v10, 0.5, v8
	v_trunc_f32_e32 v13, v10
	v_cmp_neq_f32_e64 s[2:3], v13, v10
	s_and_b64 s[2:3], s[0:1], s[2:3]
	v_cndmask_b32_e64 v10, 1.0, v5, s[2:3]
	s_brev_b32 s23, -2
	v_mov_b32_e32 v12, 0x7fc00000
	v_bfi_b32 v9, s23, v9, v10
	v_cndmask_b32_e64 v10, v12, v9, s[0:1]
	v_cmp_gt_f32_e64 s[0:1], 0, v5
	v_cndmask_b32_e64 v9, v9, v10, s[0:1]
	v_cmp_neq_f32_e64 s[0:1], v8, |v8|
	v_cmp_lt_f32_e64 s[6:7], |v5|, 1.0
	s_xor_b64 s[0:1], s[0:1], s[6:7]
	v_cndmask_b32_e64 v10, v11, 0, s[0:1]
	v_cmp_neq_f32_e64 s[0:1], |v5|, 1.0
	v_cndmask_b32_e64 v10, 1.0, v10, s[0:1]
	v_cmp_class_f32_e64 s[0:1], v8, s11
	v_cndmask_b32_e64 v9, v9, v10, s[0:1]
	v_cmp_eq_f32_e64 s[0:1], 0, v5
	v_cmp_gt_f32_e64 s[6:7], 0, v8
	s_xor_b64 s[6:7], s[6:7], s[0:1]
	v_cmp_class_f32_e64 s[34:35], v5, s11
	v_cndmask_b32_e64 v8, v11, 0, s[6:7]
	v_cndmask_b32_e64 v10, 0, v5, s[2:3]
	v_bfi_b32 v8, s23, v8, v10
	s_or_b64 s[0:1], s[0:1], s[34:35]
	v_cndmask_b32_e64 v8, v9, v8, s[0:1]
	v_cmp_o_f32_e64 s[0:1], v5, v5
	v_cndmask_b32_e64 v8, v12, v8, s[0:1]
                                        ; implicit-def: $vgpr5
	s_and_saveexec_b64 s[0:1], vcc
	s_xor_b64 s[0:1], exec, s[0:1]
	s_cbranch_execz .LBB7_9
; %bb.8:
	v_mad_u64_u32 v[9:10], s[2:3], s10, 3, v[4:5]
	v_mov_b32_e32 v10, 0
	v_mov_b32_e32 v5, s27
	v_lshlrev_b64 v[9:10], 2, v[9:10]
	v_add_co_u32_e32 v9, vcc, s26, v9
	v_addc_co_u32_e32 v10, vcc, v5, v10, vcc
	global_load_dword v5, v[9:10], off
	s_waitcnt vmcnt(0)
	v_cvt_f32_i32_e32 v5, v5
	v_mul_f32_e32 v5, v8, v5
                                        ; implicit-def: $vgpr8
.LBB7_9:
	s_andn2_saveexec_b64 s[0:1], s[0:1]
	s_cbranch_execz .LBB7_11
; %bb.10:
	v_lshl_add_u32 v9, s10, 1, v4
	v_mov_b32_e32 v10, 0
	v_lshlrev_b64 v[9:10], 2, v[9:10]
	v_mov_b32_e32 v5, s27
	v_add_co_u32_e32 v9, vcc, s26, v9
	v_addc_co_u32_e32 v10, vcc, v5, v10, vcc
	global_load_dword v5, v[9:10], off
	s_waitcnt vmcnt(0)
	v_cvt_f32_i32_e32 v5, v5
	v_mul_f32_e32 v5, v8, v5
.LBB7_11:
	s_or_b64 exec, exec, s[0:1]
.LBB7_12:
	s_andn2_saveexec_b64 s[6:7], s[30:31]
	s_cbranch_execz .LBB7_14
; %bb.13:
	v_add_u32_e32 v8, s10, v4
	v_mov_b32_e32 v9, 0
	v_lshlrev_b64 v[8:9], 2, v[8:9]
	v_mov_b32_e32 v5, s27
	v_add_co_u32_e32 v8, vcc, s26, v8
	v_addc_co_u32_e32 v9, vcc, v5, v9, vcc
	v_cvt_f32_i32_e32 v5, v6
	v_cmp_neq_f32_e64 vcc, s9, 1.0
	global_load_dword v9, v[8:9], off
	v_mov_b32_e32 v10, s9
	v_mul_f32_e32 v5, 0.5, v5
	v_cndmask_b32_e32 v8, 1.0, v5, vcc
	v_cmp_neq_f32_e32 vcc, 0, v8
	v_cndmask_b32_e32 v5, 1.0, v10, vcc
	s_mov_b32 s0, 0x3f2aaaab
	v_frexp_mant_f32_e64 v14, |v5|
	v_cmp_gt_f32_e32 vcc, s0, v14
	v_cndmask_b32_e64 v15, 1.0, 2.0, vcc
	v_mul_f32_e32 v14, v14, v15
	v_add_f32_e32 v16, 1.0, v14
	v_cvt_f64_f32_e64 v[10:11], |v5|
	v_rcp_f32_e32 v17, v16
	v_add_f32_e32 v15, -1.0, v14
	v_add_f32_e32 v18, -1.0, v16
	v_frexp_exp_i32_f64_e32 v10, v[10:11]
	v_sub_f32_e32 v11, v14, v18
	v_mul_f32_e32 v14, v15, v17
	v_mul_f32_e32 v18, v16, v14
	v_fma_f32 v16, v14, v16, -v18
	v_fmac_f32_e32 v16, v14, v11
	v_add_f32_e32 v11, v18, v16
	v_sub_f32_e32 v19, v15, v11
	v_sub_f32_e32 v18, v11, v18
	;; [unrolled: 1-line block ×5, first 2 shown]
	v_add_f32_e32 v11, v16, v11
	v_add_f32_e32 v11, v19, v11
	v_mul_f32_e32 v11, v17, v11
	v_add_f32_e32 v15, v14, v11
	v_sub_f32_e32 v14, v15, v14
	v_mul_f32_e32 v16, v15, v15
	v_sub_f32_e32 v11, v11, v14
	v_fma_f32 v14, v15, v15, -v16
	v_add_f32_e32 v17, v11, v11
	v_fmac_f32_e32 v14, v15, v17
	v_mov_b32_e32 v12, 0x3e91f4c4
	v_add_f32_e32 v17, v16, v14
	v_mov_b32_e32 v13, 0x3ecccdef
	v_fmac_f32_e32 v12, 0x3e76c4e1, v17
	v_sub_f32_e32 v16, v17, v16
	v_mul_f32_e32 v18, v15, v17
	v_fmac_f32_e32 v13, v17, v12
	v_sub_f32_e32 v12, v14, v16
	v_fma_f32 v14, v17, v15, -v18
	v_fmac_f32_e32 v14, v17, v11
	v_mul_f32_e32 v16, v17, v13
	v_fmac_f32_e32 v14, v12, v15
	v_fma_f32 v17, v17, v13, -v16
	v_add_f32_e32 v19, v18, v14
	v_fmac_f32_e32 v17, v12, v13
	v_sub_f32_e32 v12, v19, v18
	v_add_f32_e32 v13, v16, v17
	v_sub_f32_e32 v12, v14, v12
	v_add_f32_e32 v14, 0x3f2aaaaa, v13
	v_sub_f32_e32 v16, v13, v16
	v_sub_f32_e32 v16, v17, v16
	v_add_f32_e32 v17, 0xbf2aaaaa, v14
	v_add_f32_e32 v16, 0x31739010, v16
	v_sub_f32_e32 v13, v13, v17
	v_subbrev_co_u32_e32 v10, vcc, 0, v10, vcc
	v_add_f32_e32 v13, v16, v13
	v_cvt_f32_i32_e32 v10, v10
	v_add_f32_e32 v16, v14, v13
	v_sub_f32_e32 v14, v14, v16
	v_mul_f32_e32 v17, v19, v16
	v_add_f32_e32 v13, v13, v14
	v_fma_f32 v14, v19, v16, -v17
	v_fmac_f32_e32 v14, v19, v13
	s_mov_b32 s1, 0x3f317218
	v_fmac_f32_e32 v14, v12, v16
	v_mul_f32_e32 v12, 0x3f317218, v10
	v_fma_f32 v13, v10, s1, -v12
	v_fmac_f32_e32 v13, 0xb102e308, v10
	v_ldexp_f32 v10, v11, 1
	v_ldexp_f32 v11, v15, 1
	v_add_f32_e32 v15, v12, v13
	v_sub_f32_e32 v12, v15, v12
	v_sub_f32_e32 v12, v13, v12
	v_add_f32_e32 v13, v17, v14
	v_sub_f32_e32 v16, v13, v17
	v_sub_f32_e32 v14, v14, v16
	;; [unrolled: 3-line block ×3, first 2 shown]
	v_add_f32_e32 v10, v10, v14
	v_add_f32_e32 v10, v10, v11
	;; [unrolled: 1-line block ×3, first 2 shown]
	v_sub_f32_e32 v13, v11, v16
	v_sub_f32_e32 v10, v10, v13
	v_add_f32_e32 v13, v15, v11
	v_sub_f32_e32 v14, v13, v15
	v_sub_f32_e32 v16, v13, v14
	;; [unrolled: 1-line block ×4, first 2 shown]
	v_add_f32_e32 v14, v12, v10
	v_add_f32_e32 v11, v11, v15
	v_sub_f32_e32 v15, v14, v12
	v_sub_f32_e32 v16, v14, v15
	;; [unrolled: 1-line block ×4, first 2 shown]
	v_add_f32_e32 v11, v14, v11
	v_add_f32_e32 v10, v10, v12
	;; [unrolled: 1-line block ×3, first 2 shown]
	v_sub_f32_e32 v13, v12, v13
	v_sub_f32_e32 v11, v11, v13
	v_add_f32_e32 v10, v10, v11
	v_add_f32_e32 v11, v12, v10
	v_sub_f32_e32 v12, v11, v12
	v_sub_f32_e32 v10, v10, v12
	v_mul_f32_e32 v12, v8, v11
	v_fma_f32 v11, v8, v11, -v12
	v_fmac_f32_e32 v11, v8, v10
	s_movk_i32 s11, 0x204
	v_add_f32_e32 v10, v12, v11
	v_cmp_class_f32_e64 vcc, v12, s11
	v_sub_f32_e32 v13, v10, v12
	v_cndmask_b32_e32 v10, v10, v12, vcc
	s_mov_b32 s1, 0x42b17218
	v_mov_b32_e32 v12, 0x37000000
	v_cmp_eq_f32_e32 vcc, s1, v10
	v_cndmask_b32_e32 v12, 0, v12, vcc
	v_sub_f32_e32 v11, v11, v13
	v_sub_f32_e32 v13, v10, v12
	s_mov_b32 s2, 0x3fb8aa3b
	v_mul_f32_e32 v14, 0x3fb8aa3b, v13
	v_fma_f32 v15, v13, s2, -v14
	v_rndne_f32_e32 v16, v14
	v_fmac_f32_e32 v15, 0x32a5705f, v13
	v_sub_f32_e32 v14, v14, v16
	v_add_f32_e32 v14, v14, v15
	v_exp_f32_e32 v14, v14
	v_cvt_i32_f32_e32 v15, v16
	s_mov_b32 s0, 0x7f800000
	v_cmp_neq_f32_e64 vcc, |v10|, s0
	s_mov_b32 s0, 0xc2ce8ed0
	v_cndmask_b32_e32 v10, 0, v11, vcc
	v_ldexp_f32 v11, v14, v15
	v_cmp_ngt_f32_e32 vcc, s0, v13
	v_add_f32_e32 v10, v12, v10
	v_cndmask_b32_e32 v11, 0, v11, vcc
	v_mov_b32_e32 v12, 0x7f800000
	v_cmp_nlt_f32_e32 vcc, s1, v13
	v_cndmask_b32_e32 v11, v12, v11, vcc
	v_fma_f32 v10, v11, v10, v11
	v_cmp_class_f32_e64 vcc, v11, s11
	v_cndmask_b32_e32 v10, v10, v11, vcc
	v_trunc_f32_e32 v11, v8
	v_cmp_eq_f32_e32 vcc, v11, v8
	v_mul_f32_e32 v11, 0.5, v8
	v_trunc_f32_e32 v14, v11
	v_cmp_neq_f32_e64 s[0:1], v14, v11
	s_and_b64 s[0:1], vcc, s[0:1]
	v_cndmask_b32_e64 v11, 1.0, v5, s[0:1]
	s_brev_b32 s23, -2
	v_mov_b32_e32 v13, 0x7fc00000
	v_bfi_b32 v10, s23, v10, v11
	v_cmp_neq_f32_e64 s[2:3], v8, |v8|
	v_cmp_lt_f32_e64 s[30:31], |v5|, 1.0
	v_cndmask_b32_e32 v11, v13, v10, vcc
	v_cmp_gt_f32_e32 vcc, 0, v5
	s_xor_b64 s[2:3], s[2:3], s[30:31]
	v_cndmask_b32_e32 v10, v10, v11, vcc
	v_cndmask_b32_e64 v11, v12, 0, s[2:3]
	v_cmp_neq_f32_e64 vcc, |v5|, 1.0
	v_cndmask_b32_e32 v11, 1.0, v11, vcc
	v_cmp_class_f32_e64 vcc, v8, s11
	v_cndmask_b32_e32 v10, v10, v11, vcc
	v_cmp_eq_f32_e32 vcc, 0, v5
	v_cmp_gt_f32_e64 s[2:3], 0, v8
	s_xor_b64 s[2:3], s[2:3], vcc
	s_waitcnt vmcnt(0)
	v_cvt_f32_i32_e32 v9, v9
	v_cmp_class_f32_e64 s[30:31], v5, s11
	v_cndmask_b32_e64 v8, v12, 0, s[2:3]
	v_cndmask_b32_e64 v11, 0, v5, s[0:1]
	v_bfi_b32 v8, s23, v8, v11
	s_or_b64 vcc, vcc, s[30:31]
	v_cndmask_b32_e32 v8, v10, v8, vcc
	v_cmp_o_f32_e32 vcc, v5, v5
	v_cndmask_b32_e32 v5, v13, v8, vcc
	v_mul_f32_e32 v5, v5, v9
.LBB7_14:
	s_or_b64 exec, exec, s[6:7]
.LBB7_15:
	s_andn2_saveexec_b64 s[6:7], s[28:29]
	s_cbranch_execz .LBB7_17
; %bb.16:
	v_mov_b32_e32 v5, 0
	v_lshlrev_b64 v[8:9], 2, v[4:5]
	v_mov_b32_e32 v5, s27
	v_add_co_u32_e32 v8, vcc, s26, v8
	v_addc_co_u32_e32 v9, vcc, v5, v9, vcc
	v_cvt_f32_i32_e32 v5, v6
	v_cmp_neq_f32_e64 vcc, s9, 1.0
	global_load_dword v9, v[8:9], off
	v_mov_b32_e32 v10, s9
	v_mul_f32_e32 v5, 0.5, v5
	v_cndmask_b32_e32 v8, 1.0, v5, vcc
	v_cmp_neq_f32_e32 vcc, 0, v8
	v_cndmask_b32_e32 v5, 1.0, v10, vcc
	s_mov_b32 s0, 0x3f2aaaab
	v_frexp_mant_f32_e64 v14, |v5|
	v_cmp_gt_f32_e32 vcc, s0, v14
	v_cndmask_b32_e64 v15, 1.0, 2.0, vcc
	v_mul_f32_e32 v14, v14, v15
	v_add_f32_e32 v16, 1.0, v14
	v_cvt_f64_f32_e64 v[10:11], |v5|
	v_rcp_f32_e32 v17, v16
	v_add_f32_e32 v15, -1.0, v14
	v_add_f32_e32 v18, -1.0, v16
	v_frexp_exp_i32_f64_e32 v10, v[10:11]
	v_sub_f32_e32 v11, v14, v18
	v_mul_f32_e32 v14, v15, v17
	v_mul_f32_e32 v18, v16, v14
	v_fma_f32 v16, v14, v16, -v18
	v_fmac_f32_e32 v16, v14, v11
	v_add_f32_e32 v11, v18, v16
	v_sub_f32_e32 v19, v15, v11
	v_sub_f32_e32 v18, v11, v18
	;; [unrolled: 1-line block ×5, first 2 shown]
	v_add_f32_e32 v11, v16, v11
	v_add_f32_e32 v11, v19, v11
	v_mul_f32_e32 v11, v17, v11
	v_add_f32_e32 v16, v14, v11
	v_sub_f32_e32 v14, v16, v14
	v_mul_f32_e32 v17, v16, v16
	v_sub_f32_e32 v11, v11, v14
	v_fma_f32 v14, v16, v16, -v17
	v_add_f32_e32 v18, v11, v11
	v_fmac_f32_e32 v14, v16, v18
	v_mov_b32_e32 v12, 0x3e91f4c4
	v_add_f32_e32 v18, v17, v14
	v_mov_b32_e32 v13, 0x3ecccdef
	v_fmac_f32_e32 v12, 0x3e76c4e1, v18
	v_sub_f32_e32 v17, v18, v17
	v_mul_f32_e32 v19, v16, v18
	v_fmac_f32_e32 v13, v18, v12
	v_sub_f32_e32 v12, v14, v17
	v_fma_f32 v14, v18, v16, -v19
	v_fmac_f32_e32 v14, v18, v11
	v_mul_f32_e32 v17, v18, v13
	v_fmac_f32_e32 v14, v12, v16
	v_fma_f32 v18, v18, v13, -v17
	v_add_f32_e32 v20, v19, v14
	v_fmac_f32_e32 v18, v12, v13
	v_sub_f32_e32 v12, v20, v19
	v_add_f32_e32 v13, v17, v18
	v_sub_f32_e32 v12, v14, v12
	v_add_f32_e32 v14, 0x3f2aaaaa, v13
	v_sub_f32_e32 v17, v13, v17
	v_sub_f32_e32 v17, v18, v17
	v_add_f32_e32 v18, 0xbf2aaaaa, v14
	v_subbrev_co_u32_e32 v10, vcc, 0, v10, vcc
	v_add_f32_e32 v17, 0x31739010, v17
	v_sub_f32_e32 v13, v13, v18
	v_cvt_f32_i32_e32 v10, v10
	v_add_f32_e32 v13, v17, v13
	v_add_f32_e32 v17, v14, v13
	v_sub_f32_e32 v14, v14, v17
	v_mul_f32_e32 v18, v20, v17
	v_add_f32_e32 v13, v13, v14
	v_fma_f32 v14, v20, v17, -v18
	s_mov_b32 s1, 0x3f317218
	v_mul_f32_e32 v15, 0x3f317218, v10
	v_fmac_f32_e32 v14, v20, v13
	v_fmac_f32_e32 v14, v12, v17
	v_fma_f32 v12, v10, s1, -v15
	v_fmac_f32_e32 v12, 0xb102e308, v10
	v_add_f32_e32 v13, v15, v12
	v_sub_f32_e32 v15, v13, v15
	v_sub_f32_e32 v12, v12, v15
	v_add_f32_e32 v15, v18, v14
	v_ldexp_f32 v10, v11, 1
	v_ldexp_f32 v11, v16, 1
	v_sub_f32_e32 v16, v15, v18
	v_sub_f32_e32 v14, v14, v16
	v_add_f32_e32 v16, v11, v15
	v_sub_f32_e32 v11, v16, v11
	v_sub_f32_e32 v11, v15, v11
	v_add_f32_e32 v10, v10, v14
	v_add_f32_e32 v10, v10, v11
	;; [unrolled: 1-line block ×3, first 2 shown]
	v_sub_f32_e32 v14, v11, v16
	v_sub_f32_e32 v10, v10, v14
	v_add_f32_e32 v14, v13, v11
	v_sub_f32_e32 v15, v14, v13
	v_sub_f32_e32 v16, v14, v15
	;; [unrolled: 1-line block ×4, first 2 shown]
	v_add_f32_e32 v11, v11, v13
	v_add_f32_e32 v13, v12, v10
	v_sub_f32_e32 v15, v13, v12
	v_sub_f32_e32 v16, v13, v15
	;; [unrolled: 1-line block ×4, first 2 shown]
	v_add_f32_e32 v11, v13, v11
	v_add_f32_e32 v10, v10, v12
	;; [unrolled: 1-line block ×3, first 2 shown]
	v_sub_f32_e32 v13, v12, v14
	v_sub_f32_e32 v11, v11, v13
	v_add_f32_e32 v10, v10, v11
	v_add_f32_e32 v11, v12, v10
	v_sub_f32_e32 v12, v11, v12
	v_sub_f32_e32 v10, v10, v12
	v_mul_f32_e32 v12, v8, v11
	v_fma_f32 v11, v8, v11, -v12
	v_fmac_f32_e32 v11, v8, v10
	s_movk_i32 s11, 0x204
	v_add_f32_e32 v10, v12, v11
	v_cmp_class_f32_e64 vcc, v12, s11
	v_sub_f32_e32 v13, v10, v12
	v_cndmask_b32_e32 v10, v10, v12, vcc
	s_mov_b32 s1, 0x42b17218
	v_mov_b32_e32 v12, 0x37000000
	v_cmp_eq_f32_e32 vcc, s1, v10
	v_cndmask_b32_e32 v12, 0, v12, vcc
	v_sub_f32_e32 v11, v11, v13
	v_sub_f32_e32 v13, v10, v12
	s_mov_b32 s2, 0x3fb8aa3b
	v_mul_f32_e32 v14, 0x3fb8aa3b, v13
	v_fma_f32 v15, v13, s2, -v14
	v_rndne_f32_e32 v16, v14
	v_fmac_f32_e32 v15, 0x32a5705f, v13
	v_sub_f32_e32 v14, v14, v16
	v_add_f32_e32 v14, v14, v15
	v_exp_f32_e32 v14, v14
	v_cvt_i32_f32_e32 v15, v16
	s_mov_b32 s0, 0x7f800000
	v_cmp_neq_f32_e64 vcc, |v10|, s0
	s_mov_b32 s0, 0xc2ce8ed0
	v_cndmask_b32_e32 v10, 0, v11, vcc
	v_ldexp_f32 v11, v14, v15
	v_cmp_ngt_f32_e32 vcc, s0, v13
	v_add_f32_e32 v10, v12, v10
	v_cndmask_b32_e32 v11, 0, v11, vcc
	v_mov_b32_e32 v12, 0x7f800000
	v_cmp_nlt_f32_e32 vcc, s1, v13
	v_cndmask_b32_e32 v11, v12, v11, vcc
	v_fma_f32 v10, v11, v10, v11
	v_cmp_class_f32_e64 vcc, v11, s11
	v_cndmask_b32_e32 v10, v10, v11, vcc
	v_trunc_f32_e32 v11, v8
	v_cmp_eq_f32_e32 vcc, v11, v8
	v_mul_f32_e32 v11, 0.5, v8
	v_trunc_f32_e32 v14, v11
	v_cmp_neq_f32_e64 s[0:1], v14, v11
	s_and_b64 s[0:1], vcc, s[0:1]
	v_cndmask_b32_e64 v11, 1.0, v5, s[0:1]
	s_brev_b32 s23, -2
	v_mov_b32_e32 v13, 0x7fc00000
	v_bfi_b32 v10, s23, v10, v11
	v_cmp_neq_f32_e64 s[2:3], v8, |v8|
	v_cmp_lt_f32_e64 s[28:29], |v5|, 1.0
	v_cndmask_b32_e32 v11, v13, v10, vcc
	v_cmp_gt_f32_e32 vcc, 0, v5
	s_xor_b64 s[2:3], s[2:3], s[28:29]
	v_cndmask_b32_e32 v10, v10, v11, vcc
	v_cndmask_b32_e64 v11, v12, 0, s[2:3]
	v_cmp_neq_f32_e64 vcc, |v5|, 1.0
	v_cndmask_b32_e32 v11, 1.0, v11, vcc
	v_cmp_class_f32_e64 vcc, v8, s11
	v_cndmask_b32_e32 v10, v10, v11, vcc
	v_cmp_eq_f32_e32 vcc, 0, v5
	v_cmp_gt_f32_e64 s[2:3], 0, v8
	s_xor_b64 s[2:3], s[2:3], vcc
	s_waitcnt vmcnt(0)
	v_cvt_f32_i32_e32 v9, v9
	v_cmp_class_f32_e64 s[28:29], v5, s11
	v_cndmask_b32_e64 v8, v12, 0, s[2:3]
	v_cndmask_b32_e64 v11, 0, v5, s[0:1]
	v_bfi_b32 v8, s23, v8, v11
	s_or_b64 vcc, vcc, s[28:29]
	v_cndmask_b32_e32 v8, v10, v8, vcc
	v_cmp_o_f32_e32 vcc, v5, v5
	v_cndmask_b32_e32 v5, v13, v8, vcc
	v_mul_f32_e32 v5, v5, v9
.LBB7_17:
	s_or_b64 exec, exec, s[6:7]
	s_cbranch_execz .LBB7_19
	s_branch .LBB7_32
.LBB7_18:
                                        ; implicit-def: $vgpr5
.LBB7_19:
	s_mov_b32 s0, 0x55555556
	v_mul_hi_i32 v5, v7, s0
	s_mul_i32 s0, s21, 3
	v_cmp_le_i32_e64 s[0:1], s0, v7
	v_lshrrev_b32_e32 v8, 31, v5
	v_add_u32_e32 v5, v5, v8
	v_lshl_add_u32 v5, v5, 1, v5
	v_sub_u32_e32 v8, v7, v5
	v_cmp_ne_u32_e32 vcc, 1, v8
	s_or_b64 s[0:1], vcc, s[0:1]
                                        ; implicit-def: $vgpr5
	s_and_saveexec_b64 s[2:3], s[0:1]
	s_xor_b64 s[6:7], exec, s[2:3]
	s_cbranch_execz .LBB7_29
; %bb.20:
	s_mul_i32 s0, s22, 3
	v_cmp_ne_u32_e32 vcc, 2, v8
	v_cmp_le_i32_e64 s[0:1], s0, v7
	s_or_b64 s[0:1], vcc, s[0:1]
                                        ; implicit-def: $vgpr5
	s_and_saveexec_b64 s[2:3], s[0:1]
	s_xor_b64 s[22:23], exec, s[2:3]
	s_cbranch_execz .LBB7_26
; %bb.21:
	s_mul_i32 s0, s20, 3
	v_cmp_ne_u32_e32 vcc, 0, v8
	v_cmp_le_i32_e64 s[0:1], s0, v7
	s_or_b64 s[0:1], vcc, s[0:1]
                                        ; implicit-def: $vgpr5
	s_and_saveexec_b64 s[2:3], s[0:1]
	s_xor_b64 s[20:21], exec, s[2:3]
	s_cbranch_execz .LBB7_23
; %bb.22:
	v_mad_u64_u32 v[4:5], s[0:1], s10, 3, v[4:5]
	v_mov_b32_e32 v5, 0
	v_mov_b32_e32 v7, s27
	v_lshlrev_b64 v[4:5], 2, v[4:5]
	s_mov_b32 s0, 0x3f2aaaab
	v_add_co_u32_e32 v4, vcc, s26, v4
	v_addc_co_u32_e32 v5, vcc, v7, v5, vcc
	global_load_dword v7, v[4:5], off
	v_cvt_f32_i32_e32 v4, v6
	v_cmp_neq_f32_e64 vcc, s9, 1.0
	v_mov_b32_e32 v6, s9
	v_mov_b32_e32 v10, 0x3e91f4c4
	v_mul_f32_e32 v4, 0.5, v4
	v_cndmask_b32_e32 v5, 1.0, v4, vcc
	v_cmp_neq_f32_e32 vcc, 0, v5
	v_cndmask_b32_e32 v4, 1.0, v6, vcc
	v_frexp_mant_f32_e64 v6, |v4|
	v_cmp_gt_f32_e32 vcc, s0, v6
	v_cndmask_b32_e64 v12, 1.0, 2.0, vcc
	v_mul_f32_e32 v6, v6, v12
	v_add_f32_e32 v13, 1.0, v6
	v_cvt_f64_f32_e64 v[8:9], |v4|
	v_rcp_f32_e32 v14, v13
	v_add_f32_e32 v12, -1.0, v6
	v_add_f32_e32 v15, -1.0, v13
	v_frexp_exp_i32_f64_e32 v8, v[8:9]
	v_mul_f32_e32 v9, v12, v14
	v_sub_f32_e32 v6, v6, v15
	v_mul_f32_e32 v15, v13, v9
	v_fma_f32 v13, v9, v13, -v15
	v_fmac_f32_e32 v13, v9, v6
	v_add_f32_e32 v6, v15, v13
	v_sub_f32_e32 v16, v12, v6
	v_sub_f32_e32 v15, v6, v15
	;; [unrolled: 1-line block ×5, first 2 shown]
	v_add_f32_e32 v6, v13, v6
	v_add_f32_e32 v6, v16, v6
	v_mul_f32_e32 v6, v14, v6
	v_add_f32_e32 v14, v9, v6
	v_sub_f32_e32 v9, v14, v9
	v_mul_f32_e32 v15, v14, v14
	v_sub_f32_e32 v6, v6, v9
	v_fma_f32 v9, v14, v14, -v15
	v_add_f32_e32 v16, v6, v6
	v_fmac_f32_e32 v9, v14, v16
	v_add_f32_e32 v16, v15, v9
	v_mov_b32_e32 v11, 0x3ecccdef
	v_fmac_f32_e32 v10, 0x3e76c4e1, v16
	v_mul_f32_e32 v17, v14, v16
	v_sub_f32_e32 v15, v16, v15
	v_fmac_f32_e32 v11, v16, v10
	v_fma_f32 v10, v16, v14, -v17
	v_sub_f32_e32 v9, v9, v15
	v_fmac_f32_e32 v10, v16, v6
	v_mul_f32_e32 v15, v16, v11
	v_fmac_f32_e32 v10, v9, v14
	v_fma_f32 v16, v16, v11, -v15
	v_add_f32_e32 v18, v17, v10
	v_fmac_f32_e32 v16, v9, v11
	v_sub_f32_e32 v9, v18, v17
	v_add_f32_e32 v11, v15, v16
	v_subbrev_co_u32_e32 v8, vcc, 0, v8, vcc
	v_sub_f32_e32 v9, v10, v9
	v_add_f32_e32 v10, 0x3f2aaaaa, v11
	v_sub_f32_e32 v15, v11, v15
	v_cvt_f32_i32_e32 v8, v8
	v_sub_f32_e32 v15, v16, v15
	v_add_f32_e32 v16, 0xbf2aaaaa, v10
	v_add_f32_e32 v15, 0x31739010, v15
	v_sub_f32_e32 v11, v11, v16
	v_add_f32_e32 v11, v15, v11
	v_add_f32_e32 v15, v10, v11
	s_mov_b32 s1, 0x3f317218
	v_mul_f32_e32 v12, 0x3f317218, v8
	v_sub_f32_e32 v10, v10, v15
	v_mul_f32_e32 v16, v18, v15
	v_fma_f32 v13, v8, s1, -v12
	v_add_f32_e32 v10, v11, v10
	v_fma_f32 v11, v18, v15, -v16
	v_fmac_f32_e32 v11, v18, v10
	v_fmac_f32_e32 v13, 0xb102e308, v8
	;; [unrolled: 1-line block ×3, first 2 shown]
	v_add_f32_e32 v9, v12, v13
	v_sub_f32_e32 v10, v9, v12
	v_add_f32_e32 v12, v16, v11
	v_ldexp_f32 v8, v14, 1
	v_sub_f32_e32 v10, v13, v10
	v_sub_f32_e32 v13, v12, v16
	;; [unrolled: 1-line block ×3, first 2 shown]
	v_add_f32_e32 v13, v8, v12
	v_ldexp_f32 v6, v6, 1
	v_sub_f32_e32 v8, v13, v8
	v_sub_f32_e32 v8, v12, v8
	v_add_f32_e32 v6, v6, v11
	v_add_f32_e32 v6, v6, v8
	;; [unrolled: 1-line block ×3, first 2 shown]
	v_sub_f32_e32 v11, v8, v13
	v_sub_f32_e32 v6, v6, v11
	v_add_f32_e32 v11, v9, v8
	v_sub_f32_e32 v12, v11, v9
	v_sub_f32_e32 v13, v11, v12
	;; [unrolled: 1-line block ×4, first 2 shown]
	v_add_f32_e32 v8, v8, v9
	v_add_f32_e32 v9, v10, v6
	v_sub_f32_e32 v12, v9, v10
	v_sub_f32_e32 v13, v9, v12
	v_add_f32_e32 v8, v9, v8
	v_sub_f32_e32 v10, v10, v13
	v_sub_f32_e32 v6, v6, v12
	v_add_f32_e32 v9, v11, v8
	v_add_f32_e32 v6, v6, v10
	v_sub_f32_e32 v10, v9, v11
	v_sub_f32_e32 v8, v8, v10
	v_add_f32_e32 v6, v6, v8
	v_add_f32_e32 v8, v9, v6
	v_sub_f32_e32 v9, v8, v9
	v_sub_f32_e32 v6, v6, v9
	v_mul_f32_e32 v9, v5, v8
	v_fma_f32 v8, v5, v8, -v9
	v_fmac_f32_e32 v8, v5, v6
	s_movk_i32 s11, 0x204
	v_add_f32_e32 v6, v9, v8
	v_cmp_class_f32_e64 vcc, v9, s11
	v_sub_f32_e32 v10, v6, v9
	v_cndmask_b32_e32 v6, v6, v9, vcc
	s_mov_b32 s1, 0x42b17218
	v_mov_b32_e32 v9, 0x37000000
	v_cmp_eq_f32_e32 vcc, s1, v6
	v_cndmask_b32_e32 v9, 0, v9, vcc
	v_sub_f32_e32 v8, v8, v10
	v_sub_f32_e32 v10, v6, v9
	s_mov_b32 s2, 0x3fb8aa3b
	v_mul_f32_e32 v11, 0x3fb8aa3b, v10
	v_fma_f32 v12, v10, s2, -v11
	v_rndne_f32_e32 v13, v11
	v_fmac_f32_e32 v12, 0x32a5705f, v10
	v_sub_f32_e32 v11, v11, v13
	v_add_f32_e32 v11, v11, v12
	v_exp_f32_e32 v11, v11
	v_cvt_i32_f32_e32 v12, v13
	s_mov_b32 s0, 0x7f800000
	v_cmp_neq_f32_e64 vcc, |v6|, s0
	s_mov_b32 s0, 0xc2ce8ed0
	v_cndmask_b32_e32 v6, 0, v8, vcc
	v_ldexp_f32 v8, v11, v12
	v_cmp_ngt_f32_e32 vcc, s0, v10
	v_add_f32_e32 v6, v9, v6
	v_cndmask_b32_e32 v8, 0, v8, vcc
	v_mov_b32_e32 v9, 0x7f800000
	v_cmp_nlt_f32_e32 vcc, s1, v10
	v_cndmask_b32_e32 v8, v9, v8, vcc
	v_fma_f32 v6, v8, v6, v8
	v_cmp_class_f32_e64 vcc, v8, s11
	v_cndmask_b32_e32 v6, v6, v8, vcc
	v_trunc_f32_e32 v8, v5
	v_cmp_eq_f32_e32 vcc, v8, v5
	v_mul_f32_e32 v8, 0.5, v5
	v_trunc_f32_e32 v11, v8
	v_cmp_neq_f32_e64 s[0:1], v11, v8
	s_and_b64 s[0:1], vcc, s[0:1]
	v_cndmask_b32_e64 v8, 1.0, v4, s[0:1]
	s_brev_b32 s24, -2
	v_mov_b32_e32 v10, 0x7fc00000
	v_bfi_b32 v6, s24, v6, v8
	v_cmp_neq_f32_e64 s[2:3], v5, |v5|
	v_cmp_lt_f32_e64 s[28:29], |v4|, 1.0
	v_cndmask_b32_e32 v8, v10, v6, vcc
	v_cmp_gt_f32_e32 vcc, 0, v4
	s_xor_b64 s[2:3], s[2:3], s[28:29]
	v_cndmask_b32_e32 v6, v6, v8, vcc
	v_cndmask_b32_e64 v8, v9, 0, s[2:3]
	v_cmp_neq_f32_e64 vcc, |v4|, 1.0
	v_cndmask_b32_e32 v8, 1.0, v8, vcc
	v_cmp_class_f32_e64 vcc, v5, s11
	v_cndmask_b32_e32 v6, v6, v8, vcc
	v_cmp_eq_f32_e32 vcc, 0, v4
	v_cmp_gt_f32_e64 s[2:3], 0, v5
	s_xor_b64 s[2:3], s[2:3], vcc
	s_waitcnt vmcnt(0)
	v_cvt_f32_i32_e32 v7, v7
	v_cmp_class_f32_e64 s[28:29], v4, s11
	v_cndmask_b32_e64 v5, v9, 0, s[2:3]
	v_cndmask_b32_e64 v8, 0, v4, s[0:1]
	v_bfi_b32 v5, s24, v5, v8
	s_or_b64 vcc, vcc, s[28:29]
	v_cndmask_b32_e32 v5, v6, v5, vcc
	v_cmp_o_f32_e32 vcc, v4, v4
	v_cndmask_b32_e32 v4, v10, v5, vcc
	v_mul_f32_e32 v5, v4, v7
                                        ; implicit-def: $vgpr4
                                        ; implicit-def: $vgpr6
.LBB7_23:
	s_andn2_saveexec_b64 s[20:21], s[20:21]
	s_cbranch_execz .LBB7_25
; %bb.24:
	v_mov_b32_e32 v5, 0
	v_lshlrev_b64 v[4:5], 2, v[4:5]
	v_mov_b32_e32 v7, s27
	v_add_co_u32_e32 v4, vcc, s26, v4
	v_addc_co_u32_e32 v5, vcc, v7, v5, vcc
	global_load_dword v7, v[4:5], off
	v_cvt_f32_i32_e32 v4, v6
	v_cmp_neq_f32_e64 vcc, s9, 1.0
	v_mov_b32_e32 v6, s9
	s_mov_b32 s0, 0x3f2aaaab
	v_mul_f32_e32 v4, 0.5, v4
	v_cndmask_b32_e32 v5, 1.0, v4, vcc
	v_cmp_neq_f32_e32 vcc, 0, v5
	v_cndmask_b32_e32 v4, 1.0, v6, vcc
	v_frexp_mant_f32_e64 v6, |v4|
	v_cmp_gt_f32_e32 vcc, s0, v6
	v_cndmask_b32_e64 v12, 1.0, 2.0, vcc
	v_mul_f32_e32 v6, v6, v12
	v_add_f32_e32 v13, 1.0, v6
	v_cvt_f64_f32_e64 v[8:9], |v4|
	v_rcp_f32_e32 v14, v13
	v_add_f32_e32 v12, -1.0, v6
	v_add_f32_e32 v15, -1.0, v13
	v_frexp_exp_i32_f64_e32 v8, v[8:9]
	v_mul_f32_e32 v9, v12, v14
	v_sub_f32_e32 v6, v6, v15
	v_mul_f32_e32 v15, v13, v9
	v_fma_f32 v13, v9, v13, -v15
	v_fmac_f32_e32 v13, v9, v6
	v_add_f32_e32 v6, v15, v13
	v_sub_f32_e32 v16, v12, v6
	v_sub_f32_e32 v15, v6, v15
	;; [unrolled: 1-line block ×5, first 2 shown]
	v_add_f32_e32 v6, v13, v6
	v_add_f32_e32 v6, v16, v6
	v_mul_f32_e32 v6, v14, v6
	v_add_f32_e32 v13, v9, v6
	v_sub_f32_e32 v9, v13, v9
	v_mul_f32_e32 v14, v13, v13
	v_sub_f32_e32 v6, v6, v9
	v_fma_f32 v9, v13, v13, -v14
	v_add_f32_e32 v15, v6, v6
	v_fmac_f32_e32 v9, v13, v15
	v_mov_b32_e32 v10, 0x3e91f4c4
	v_add_f32_e32 v15, v14, v9
	v_mov_b32_e32 v11, 0x3ecccdef
	v_fmac_f32_e32 v10, 0x3e76c4e1, v15
	v_mul_f32_e32 v16, v13, v15
	v_sub_f32_e32 v14, v15, v14
	v_fmac_f32_e32 v11, v15, v10
	v_fma_f32 v10, v15, v13, -v16
	v_sub_f32_e32 v9, v9, v14
	v_fmac_f32_e32 v10, v15, v6
	v_mul_f32_e32 v14, v15, v11
	v_fmac_f32_e32 v10, v9, v13
	v_fma_f32 v15, v15, v11, -v14
	v_add_f32_e32 v17, v16, v10
	v_fmac_f32_e32 v15, v9, v11
	v_sub_f32_e32 v9, v17, v16
	v_add_f32_e32 v11, v14, v15
	v_sub_f32_e32 v9, v10, v9
	v_add_f32_e32 v10, 0x3f2aaaaa, v11
	v_sub_f32_e32 v14, v11, v14
	v_sub_f32_e32 v14, v15, v14
	v_add_f32_e32 v15, 0xbf2aaaaa, v10
	v_subbrev_co_u32_e32 v8, vcc, 0, v8, vcc
	v_add_f32_e32 v14, 0x31739010, v14
	v_sub_f32_e32 v11, v11, v15
	v_cvt_f32_i32_e32 v8, v8
	v_add_f32_e32 v11, v14, v11
	v_add_f32_e32 v14, v10, v11
	v_sub_f32_e32 v10, v10, v14
	v_mul_f32_e32 v15, v17, v14
	v_add_f32_e32 v10, v11, v10
	v_fma_f32 v11, v17, v14, -v15
	s_mov_b32 s1, 0x3f317218
	v_mul_f32_e32 v12, 0x3f317218, v8
	v_fmac_f32_e32 v11, v17, v10
	v_fmac_f32_e32 v11, v9, v14
	v_fma_f32 v9, v8, s1, -v12
	v_fmac_f32_e32 v9, 0xb102e308, v8
	v_add_f32_e32 v10, v12, v9
	v_sub_f32_e32 v12, v10, v12
	v_sub_f32_e32 v9, v9, v12
	v_add_f32_e32 v12, v15, v11
	v_ldexp_f32 v8, v13, 1
	v_sub_f32_e32 v13, v12, v15
	v_sub_f32_e32 v11, v11, v13
	v_add_f32_e32 v13, v8, v12
	v_ldexp_f32 v6, v6, 1
	v_sub_f32_e32 v8, v13, v8
	v_sub_f32_e32 v8, v12, v8
	v_add_f32_e32 v6, v6, v11
	v_add_f32_e32 v6, v6, v8
	v_add_f32_e32 v8, v13, v6
	v_sub_f32_e32 v11, v8, v13
	v_sub_f32_e32 v6, v6, v11
	v_add_f32_e32 v11, v10, v8
	v_sub_f32_e32 v12, v11, v10
	v_sub_f32_e32 v13, v11, v12
	;; [unrolled: 1-line block ×4, first 2 shown]
	v_add_f32_e32 v8, v8, v10
	v_add_f32_e32 v10, v9, v6
	v_sub_f32_e32 v12, v10, v9
	v_sub_f32_e32 v13, v10, v12
	v_sub_f32_e32 v9, v9, v13
	v_sub_f32_e32 v6, v6, v12
	v_add_f32_e32 v8, v10, v8
	v_add_f32_e32 v6, v6, v9
	v_add_f32_e32 v9, v11, v8
	v_sub_f32_e32 v10, v9, v11
	v_sub_f32_e32 v8, v8, v10
	v_add_f32_e32 v6, v6, v8
	v_add_f32_e32 v8, v9, v6
	v_sub_f32_e32 v9, v8, v9
	v_sub_f32_e32 v6, v6, v9
	v_mul_f32_e32 v9, v5, v8
	v_fma_f32 v8, v5, v8, -v9
	v_fmac_f32_e32 v8, v5, v6
	s_movk_i32 s11, 0x204
	v_add_f32_e32 v6, v9, v8
	v_cmp_class_f32_e64 vcc, v9, s11
	v_sub_f32_e32 v10, v6, v9
	v_cndmask_b32_e32 v6, v6, v9, vcc
	s_mov_b32 s1, 0x42b17218
	v_mov_b32_e32 v9, 0x37000000
	v_cmp_eq_f32_e32 vcc, s1, v6
	v_cndmask_b32_e32 v9, 0, v9, vcc
	v_sub_f32_e32 v8, v8, v10
	v_sub_f32_e32 v10, v6, v9
	s_mov_b32 s2, 0x3fb8aa3b
	v_mul_f32_e32 v11, 0x3fb8aa3b, v10
	v_fma_f32 v12, v10, s2, -v11
	v_rndne_f32_e32 v13, v11
	v_fmac_f32_e32 v12, 0x32a5705f, v10
	v_sub_f32_e32 v11, v11, v13
	v_add_f32_e32 v11, v11, v12
	v_exp_f32_e32 v11, v11
	v_cvt_i32_f32_e32 v12, v13
	s_mov_b32 s0, 0x7f800000
	v_cmp_neq_f32_e64 vcc, |v6|, s0
	s_mov_b32 s0, 0xc2ce8ed0
	v_cndmask_b32_e32 v6, 0, v8, vcc
	v_ldexp_f32 v8, v11, v12
	v_cmp_ngt_f32_e32 vcc, s0, v10
	v_add_f32_e32 v6, v9, v6
	v_cndmask_b32_e32 v8, 0, v8, vcc
	v_mov_b32_e32 v9, 0x7f800000
	v_cmp_nlt_f32_e32 vcc, s1, v10
	v_cndmask_b32_e32 v8, v9, v8, vcc
	v_fma_f32 v6, v8, v6, v8
	v_cmp_class_f32_e64 vcc, v8, s11
	v_cndmask_b32_e32 v6, v6, v8, vcc
	v_trunc_f32_e32 v8, v5
	v_cmp_eq_f32_e32 vcc, v8, v5
	v_mul_f32_e32 v8, 0.5, v5
	v_trunc_f32_e32 v11, v8
	v_cmp_neq_f32_e64 s[0:1], v11, v8
	s_and_b64 s[0:1], vcc, s[0:1]
	v_cndmask_b32_e64 v8, 1.0, v4, s[0:1]
	s_brev_b32 s24, -2
	v_mov_b32_e32 v10, 0x7fc00000
	v_bfi_b32 v6, s24, v6, v8
	v_cmp_neq_f32_e64 s[2:3], v5, |v5|
	v_cmp_lt_f32_e64 s[28:29], |v4|, 1.0
	v_cndmask_b32_e32 v8, v10, v6, vcc
	v_cmp_gt_f32_e32 vcc, 0, v4
	s_xor_b64 s[2:3], s[2:3], s[28:29]
	v_cndmask_b32_e32 v6, v6, v8, vcc
	v_cndmask_b32_e64 v8, v9, 0, s[2:3]
	v_cmp_neq_f32_e64 vcc, |v4|, 1.0
	v_cndmask_b32_e32 v8, 1.0, v8, vcc
	v_cmp_class_f32_e64 vcc, v5, s11
	v_cndmask_b32_e32 v6, v6, v8, vcc
	v_cmp_eq_f32_e32 vcc, 0, v4
	v_cmp_gt_f32_e64 s[2:3], 0, v5
	s_xor_b64 s[2:3], s[2:3], vcc
	s_waitcnt vmcnt(0)
	v_cvt_f32_i32_e32 v7, v7
	v_cmp_class_f32_e64 s[28:29], v4, s11
	v_cndmask_b32_e64 v5, v9, 0, s[2:3]
	v_cndmask_b32_e64 v8, 0, v4, s[0:1]
	v_bfi_b32 v5, s24, v5, v8
	s_or_b64 vcc, vcc, s[28:29]
	v_cndmask_b32_e32 v5, v6, v5, vcc
	v_cmp_o_f32_e32 vcc, v4, v4
	v_cndmask_b32_e32 v4, v10, v5, vcc
	v_mul_f32_e32 v5, v4, v7
.LBB7_25:
	s_or_b64 exec, exec, s[20:21]
                                        ; implicit-def: $vgpr4
                                        ; implicit-def: $vgpr6
.LBB7_26:
	s_andn2_saveexec_b64 s[20:21], s[22:23]
	s_cbranch_execz .LBB7_28
; %bb.27:
	v_lshl_add_u32 v4, s10, 1, v4
	v_mov_b32_e32 v5, 0
	v_lshlrev_b64 v[4:5], 2, v[4:5]
	v_mov_b32_e32 v7, s27
	v_add_co_u32_e32 v4, vcc, s26, v4
	v_addc_co_u32_e32 v5, vcc, v7, v5, vcc
	global_load_dword v7, v[4:5], off
	v_cvt_f32_i32_e32 v4, v6
	v_cmp_neq_f32_e64 vcc, s9, 1.0
	v_mov_b32_e32 v6, s9
	s_mov_b32 s0, 0x3f2aaaab
	v_mul_f32_e32 v4, 0.5, v4
	v_cndmask_b32_e32 v5, 1.0, v4, vcc
	v_cmp_neq_f32_e32 vcc, 0, v5
	v_cndmask_b32_e32 v4, 1.0, v6, vcc
	v_frexp_mant_f32_e64 v6, |v4|
	v_cmp_gt_f32_e32 vcc, s0, v6
	v_cndmask_b32_e64 v12, 1.0, 2.0, vcc
	v_mul_f32_e32 v6, v6, v12
	v_add_f32_e32 v13, 1.0, v6
	v_cvt_f64_f32_e64 v[8:9], |v4|
	v_rcp_f32_e32 v14, v13
	v_add_f32_e32 v12, -1.0, v6
	v_add_f32_e32 v15, -1.0, v13
	v_frexp_exp_i32_f64_e32 v8, v[8:9]
	v_mul_f32_e32 v9, v12, v14
	v_sub_f32_e32 v6, v6, v15
	v_mul_f32_e32 v15, v13, v9
	v_fma_f32 v13, v9, v13, -v15
	v_fmac_f32_e32 v13, v9, v6
	v_add_f32_e32 v6, v15, v13
	v_sub_f32_e32 v16, v12, v6
	v_sub_f32_e32 v15, v6, v15
	;; [unrolled: 1-line block ×5, first 2 shown]
	v_add_f32_e32 v6, v13, v6
	v_add_f32_e32 v6, v16, v6
	v_mul_f32_e32 v6, v14, v6
	v_add_f32_e32 v12, v9, v6
	v_sub_f32_e32 v9, v12, v9
	v_mul_f32_e32 v13, v12, v12
	v_sub_f32_e32 v6, v6, v9
	v_fma_f32 v9, v12, v12, -v13
	v_add_f32_e32 v14, v6, v6
	v_fmac_f32_e32 v9, v12, v14
	v_mov_b32_e32 v10, 0x3e91f4c4
	v_add_f32_e32 v14, v13, v9
	v_mov_b32_e32 v11, 0x3ecccdef
	v_fmac_f32_e32 v10, 0x3e76c4e1, v14
	v_mul_f32_e32 v15, v12, v14
	v_sub_f32_e32 v13, v14, v13
	v_fmac_f32_e32 v11, v14, v10
	v_fma_f32 v10, v14, v12, -v15
	v_sub_f32_e32 v9, v9, v13
	v_fmac_f32_e32 v10, v14, v6
	v_mul_f32_e32 v13, v14, v11
	v_fmac_f32_e32 v10, v9, v12
	v_fma_f32 v14, v14, v11, -v13
	v_add_f32_e32 v16, v15, v10
	v_fmac_f32_e32 v14, v9, v11
	v_sub_f32_e32 v9, v16, v15
	v_add_f32_e32 v11, v13, v14
	v_sub_f32_e32 v9, v10, v9
	v_add_f32_e32 v10, 0x3f2aaaaa, v11
	v_sub_f32_e32 v13, v11, v13
	v_sub_f32_e32 v13, v14, v13
	v_add_f32_e32 v14, 0xbf2aaaaa, v10
	v_add_f32_e32 v13, 0x31739010, v13
	v_sub_f32_e32 v11, v11, v14
	v_subbrev_co_u32_e32 v8, vcc, 0, v8, vcc
	v_add_f32_e32 v11, v13, v11
	v_cvt_f32_i32_e32 v8, v8
	v_add_f32_e32 v13, v10, v11
	v_sub_f32_e32 v10, v10, v13
	v_mul_f32_e32 v14, v16, v13
	v_add_f32_e32 v10, v11, v10
	v_fma_f32 v11, v16, v13, -v14
	v_fmac_f32_e32 v11, v16, v10
	s_mov_b32 s1, 0x3f317218
	v_fmac_f32_e32 v11, v9, v13
	v_mul_f32_e32 v9, 0x3f317218, v8
	v_fma_f32 v10, v8, s1, -v9
	v_fmac_f32_e32 v10, 0xb102e308, v8
	v_ldexp_f32 v8, v12, 1
	v_add_f32_e32 v12, v9, v10
	v_sub_f32_e32 v9, v12, v9
	v_sub_f32_e32 v9, v10, v9
	v_add_f32_e32 v10, v14, v11
	v_sub_f32_e32 v13, v10, v14
	v_sub_f32_e32 v11, v11, v13
	v_add_f32_e32 v13, v8, v10
	v_ldexp_f32 v6, v6, 1
	v_sub_f32_e32 v8, v13, v8
	v_sub_f32_e32 v8, v10, v8
	v_add_f32_e32 v6, v6, v11
	v_add_f32_e32 v6, v6, v8
	;; [unrolled: 1-line block ×3, first 2 shown]
	v_sub_f32_e32 v10, v8, v13
	v_sub_f32_e32 v6, v6, v10
	v_add_f32_e32 v10, v12, v8
	v_sub_f32_e32 v11, v10, v12
	v_sub_f32_e32 v13, v10, v11
	;; [unrolled: 1-line block ×4, first 2 shown]
	v_add_f32_e32 v11, v9, v6
	v_add_f32_e32 v8, v8, v12
	v_sub_f32_e32 v12, v11, v9
	v_sub_f32_e32 v13, v11, v12
	;; [unrolled: 1-line block ×4, first 2 shown]
	v_add_f32_e32 v8, v11, v8
	v_add_f32_e32 v6, v6, v9
	;; [unrolled: 1-line block ×3, first 2 shown]
	v_sub_f32_e32 v10, v9, v10
	v_sub_f32_e32 v8, v8, v10
	v_add_f32_e32 v6, v6, v8
	v_add_f32_e32 v8, v9, v6
	v_sub_f32_e32 v9, v8, v9
	v_sub_f32_e32 v6, v6, v9
	v_mul_f32_e32 v9, v5, v8
	v_fma_f32 v8, v5, v8, -v9
	v_fmac_f32_e32 v8, v5, v6
	s_movk_i32 s11, 0x204
	v_add_f32_e32 v6, v9, v8
	v_cmp_class_f32_e64 vcc, v9, s11
	v_sub_f32_e32 v10, v6, v9
	v_cndmask_b32_e32 v6, v6, v9, vcc
	s_mov_b32 s1, 0x42b17218
	v_mov_b32_e32 v9, 0x37000000
	v_cmp_eq_f32_e32 vcc, s1, v6
	v_cndmask_b32_e32 v9, 0, v9, vcc
	v_sub_f32_e32 v8, v8, v10
	v_sub_f32_e32 v10, v6, v9
	s_mov_b32 s2, 0x3fb8aa3b
	v_mul_f32_e32 v11, 0x3fb8aa3b, v10
	v_fma_f32 v12, v10, s2, -v11
	v_rndne_f32_e32 v13, v11
	v_fmac_f32_e32 v12, 0x32a5705f, v10
	v_sub_f32_e32 v11, v11, v13
	v_add_f32_e32 v11, v11, v12
	v_exp_f32_e32 v11, v11
	v_cvt_i32_f32_e32 v12, v13
	s_mov_b32 s0, 0x7f800000
	v_cmp_neq_f32_e64 vcc, |v6|, s0
	s_mov_b32 s0, 0xc2ce8ed0
	v_cndmask_b32_e32 v6, 0, v8, vcc
	v_ldexp_f32 v8, v11, v12
	v_cmp_ngt_f32_e32 vcc, s0, v10
	v_add_f32_e32 v6, v9, v6
	v_cndmask_b32_e32 v8, 0, v8, vcc
	v_mov_b32_e32 v9, 0x7f800000
	v_cmp_nlt_f32_e32 vcc, s1, v10
	v_cndmask_b32_e32 v8, v9, v8, vcc
	v_fma_f32 v6, v8, v6, v8
	v_cmp_class_f32_e64 vcc, v8, s11
	v_cndmask_b32_e32 v6, v6, v8, vcc
	v_trunc_f32_e32 v8, v5
	v_cmp_eq_f32_e32 vcc, v8, v5
	v_mul_f32_e32 v8, 0.5, v5
	v_trunc_f32_e32 v11, v8
	v_cmp_neq_f32_e64 s[0:1], v11, v8
	s_and_b64 s[0:1], vcc, s[0:1]
	v_cndmask_b32_e64 v8, 1.0, v4, s[0:1]
	s_brev_b32 s24, -2
	v_mov_b32_e32 v10, 0x7fc00000
	v_bfi_b32 v6, s24, v6, v8
	v_cmp_neq_f32_e64 s[2:3], v5, |v5|
	v_cmp_lt_f32_e64 s[22:23], |v4|, 1.0
	v_cndmask_b32_e32 v8, v10, v6, vcc
	v_cmp_gt_f32_e32 vcc, 0, v4
	s_xor_b64 s[2:3], s[2:3], s[22:23]
	v_cndmask_b32_e32 v6, v6, v8, vcc
	v_cndmask_b32_e64 v8, v9, 0, s[2:3]
	v_cmp_neq_f32_e64 vcc, |v4|, 1.0
	v_cndmask_b32_e32 v8, 1.0, v8, vcc
	v_cmp_class_f32_e64 vcc, v5, s11
	v_cndmask_b32_e32 v6, v6, v8, vcc
	v_cmp_eq_f32_e32 vcc, 0, v4
	v_cmp_gt_f32_e64 s[2:3], 0, v5
	s_xor_b64 s[2:3], s[2:3], vcc
	s_waitcnt vmcnt(0)
	v_cvt_f32_i32_e32 v7, v7
	v_cmp_class_f32_e64 s[22:23], v4, s11
	v_cndmask_b32_e64 v5, v9, 0, s[2:3]
	v_cndmask_b32_e64 v8, 0, v4, s[0:1]
	v_bfi_b32 v5, s24, v5, v8
	s_or_b64 vcc, vcc, s[22:23]
	v_cndmask_b32_e32 v5, v6, v5, vcc
	v_cmp_o_f32_e32 vcc, v4, v4
	v_cndmask_b32_e32 v4, v10, v5, vcc
	v_mul_f32_e32 v5, v4, v7
.LBB7_28:
	s_or_b64 exec, exec, s[20:21]
                                        ; implicit-def: $vgpr4
                                        ; implicit-def: $vgpr6
.LBB7_29:
	s_andn2_saveexec_b64 s[6:7], s[6:7]
	s_cbranch_execz .LBB7_31
; %bb.30:
	v_add_u32_e32 v4, s10, v4
	v_mov_b32_e32 v5, 0
	v_lshlrev_b64 v[4:5], 2, v[4:5]
	v_mov_b32_e32 v7, s27
	v_add_co_u32_e32 v4, vcc, s26, v4
	v_addc_co_u32_e32 v5, vcc, v7, v5, vcc
	global_load_dword v7, v[4:5], off
	v_cvt_f32_i32_e32 v4, v6
	v_cmp_neq_f32_e64 vcc, s9, 1.0
	v_mov_b32_e32 v6, s9
	s_mov_b32 s0, 0x3f2aaaab
	v_mul_f32_e32 v4, 0.5, v4
	v_cndmask_b32_e32 v5, 1.0, v4, vcc
	v_cmp_neq_f32_e32 vcc, 0, v5
	v_cndmask_b32_e32 v4, 1.0, v6, vcc
	v_frexp_mant_f32_e64 v6, |v4|
	v_cmp_gt_f32_e32 vcc, s0, v6
	v_cndmask_b32_e64 v12, 1.0, 2.0, vcc
	v_mul_f32_e32 v6, v6, v12
	v_add_f32_e32 v13, 1.0, v6
	v_cvt_f64_f32_e64 v[8:9], |v4|
	v_rcp_f32_e32 v14, v13
	v_add_f32_e32 v12, -1.0, v6
	v_add_f32_e32 v15, -1.0, v13
	v_frexp_exp_i32_f64_e32 v8, v[8:9]
	v_mul_f32_e32 v9, v12, v14
	v_sub_f32_e32 v6, v6, v15
	v_mul_f32_e32 v15, v13, v9
	v_fma_f32 v13, v9, v13, -v15
	v_fmac_f32_e32 v13, v9, v6
	v_add_f32_e32 v6, v15, v13
	v_sub_f32_e32 v16, v12, v6
	v_sub_f32_e32 v15, v6, v15
	;; [unrolled: 1-line block ×5, first 2 shown]
	v_add_f32_e32 v6, v13, v6
	v_add_f32_e32 v6, v16, v6
	v_mul_f32_e32 v6, v14, v6
	v_add_f32_e32 v12, v9, v6
	v_sub_f32_e32 v9, v12, v9
	v_mul_f32_e32 v13, v12, v12
	v_sub_f32_e32 v6, v6, v9
	v_fma_f32 v9, v12, v12, -v13
	v_add_f32_e32 v14, v6, v6
	v_fmac_f32_e32 v9, v12, v14
	v_mov_b32_e32 v10, 0x3e91f4c4
	v_add_f32_e32 v14, v13, v9
	v_mov_b32_e32 v11, 0x3ecccdef
	v_fmac_f32_e32 v10, 0x3e76c4e1, v14
	v_mul_f32_e32 v15, v12, v14
	v_sub_f32_e32 v13, v14, v13
	v_fmac_f32_e32 v11, v14, v10
	v_fma_f32 v10, v14, v12, -v15
	v_sub_f32_e32 v9, v9, v13
	v_fmac_f32_e32 v10, v14, v6
	v_mul_f32_e32 v13, v14, v11
	v_fmac_f32_e32 v10, v9, v12
	v_fma_f32 v14, v14, v11, -v13
	v_add_f32_e32 v16, v15, v10
	v_fmac_f32_e32 v14, v9, v11
	v_sub_f32_e32 v9, v16, v15
	v_add_f32_e32 v11, v13, v14
	v_sub_f32_e32 v9, v10, v9
	v_add_f32_e32 v10, 0x3f2aaaaa, v11
	v_sub_f32_e32 v13, v11, v13
	v_sub_f32_e32 v13, v14, v13
	v_add_f32_e32 v14, 0xbf2aaaaa, v10
	v_add_f32_e32 v13, 0x31739010, v13
	v_sub_f32_e32 v11, v11, v14
	v_subbrev_co_u32_e32 v8, vcc, 0, v8, vcc
	v_add_f32_e32 v11, v13, v11
	v_cvt_f32_i32_e32 v8, v8
	v_add_f32_e32 v13, v10, v11
	v_sub_f32_e32 v10, v10, v13
	v_mul_f32_e32 v14, v16, v13
	v_add_f32_e32 v10, v11, v10
	v_fma_f32 v11, v16, v13, -v14
	v_fmac_f32_e32 v11, v16, v10
	s_mov_b32 s1, 0x3f317218
	v_fmac_f32_e32 v11, v9, v13
	v_mul_f32_e32 v9, 0x3f317218, v8
	v_fma_f32 v10, v8, s1, -v9
	v_fmac_f32_e32 v10, 0xb102e308, v8
	v_ldexp_f32 v8, v12, 1
	v_add_f32_e32 v12, v9, v10
	v_sub_f32_e32 v9, v12, v9
	v_sub_f32_e32 v9, v10, v9
	v_add_f32_e32 v10, v14, v11
	v_sub_f32_e32 v13, v10, v14
	v_sub_f32_e32 v11, v11, v13
	v_add_f32_e32 v13, v8, v10
	v_ldexp_f32 v6, v6, 1
	v_sub_f32_e32 v8, v13, v8
	v_sub_f32_e32 v8, v10, v8
	v_add_f32_e32 v6, v6, v11
	v_add_f32_e32 v6, v6, v8
	;; [unrolled: 1-line block ×3, first 2 shown]
	v_sub_f32_e32 v10, v8, v13
	v_sub_f32_e32 v6, v6, v10
	v_add_f32_e32 v10, v12, v8
	v_sub_f32_e32 v11, v10, v12
	v_sub_f32_e32 v13, v10, v11
	;; [unrolled: 1-line block ×4, first 2 shown]
	v_add_f32_e32 v11, v9, v6
	v_add_f32_e32 v8, v8, v12
	v_sub_f32_e32 v12, v11, v9
	v_sub_f32_e32 v13, v11, v12
	v_sub_f32_e32 v9, v9, v13
	v_sub_f32_e32 v6, v6, v12
	v_add_f32_e32 v8, v11, v8
	v_add_f32_e32 v6, v6, v9
	;; [unrolled: 1-line block ×3, first 2 shown]
	v_sub_f32_e32 v10, v9, v10
	v_sub_f32_e32 v8, v8, v10
	v_add_f32_e32 v6, v6, v8
	v_add_f32_e32 v8, v9, v6
	v_sub_f32_e32 v9, v8, v9
	v_sub_f32_e32 v6, v6, v9
	v_mul_f32_e32 v9, v5, v8
	v_fma_f32 v8, v5, v8, -v9
	v_fmac_f32_e32 v8, v5, v6
	s_movk_i32 s9, 0x204
	v_add_f32_e32 v6, v9, v8
	v_cmp_class_f32_e64 vcc, v9, s9
	v_sub_f32_e32 v10, v6, v9
	v_cndmask_b32_e32 v6, v6, v9, vcc
	s_mov_b32 s1, 0x42b17218
	v_mov_b32_e32 v9, 0x37000000
	v_cmp_eq_f32_e32 vcc, s1, v6
	v_cndmask_b32_e32 v9, 0, v9, vcc
	v_sub_f32_e32 v8, v8, v10
	v_sub_f32_e32 v10, v6, v9
	s_mov_b32 s2, 0x3fb8aa3b
	v_mul_f32_e32 v11, 0x3fb8aa3b, v10
	v_fma_f32 v12, v10, s2, -v11
	v_rndne_f32_e32 v13, v11
	v_fmac_f32_e32 v12, 0x32a5705f, v10
	v_sub_f32_e32 v11, v11, v13
	v_add_f32_e32 v11, v11, v12
	v_exp_f32_e32 v11, v11
	v_cvt_i32_f32_e32 v12, v13
	s_mov_b32 s0, 0x7f800000
	v_cmp_neq_f32_e64 vcc, |v6|, s0
	s_mov_b32 s0, 0xc2ce8ed0
	v_cndmask_b32_e32 v6, 0, v8, vcc
	v_ldexp_f32 v8, v11, v12
	v_cmp_ngt_f32_e32 vcc, s0, v10
	v_add_f32_e32 v6, v9, v6
	v_cndmask_b32_e32 v8, 0, v8, vcc
	v_mov_b32_e32 v9, 0x7f800000
	v_cmp_nlt_f32_e32 vcc, s1, v10
	v_cndmask_b32_e32 v8, v9, v8, vcc
	v_fma_f32 v6, v8, v6, v8
	v_cmp_class_f32_e64 vcc, v8, s9
	v_cndmask_b32_e32 v6, v6, v8, vcc
	v_trunc_f32_e32 v8, v5
	v_cmp_eq_f32_e32 vcc, v8, v5
	v_mul_f32_e32 v8, 0.5, v5
	v_trunc_f32_e32 v11, v8
	v_cmp_neq_f32_e64 s[0:1], v11, v8
	s_and_b64 s[0:1], vcc, s[0:1]
	v_cndmask_b32_e64 v8, 1.0, v4, s[0:1]
	s_brev_b32 s20, -2
	v_mov_b32_e32 v10, 0x7fc00000
	v_bfi_b32 v6, s20, v6, v8
	v_cmp_neq_f32_e64 s[2:3], v5, |v5|
	v_cmp_lt_f32_e64 s[10:11], |v4|, 1.0
	v_cndmask_b32_e32 v8, v10, v6, vcc
	v_cmp_gt_f32_e32 vcc, 0, v4
	s_xor_b64 s[2:3], s[2:3], s[10:11]
	v_cndmask_b32_e32 v6, v6, v8, vcc
	v_cndmask_b32_e64 v8, v9, 0, s[2:3]
	v_cmp_neq_f32_e64 vcc, |v4|, 1.0
	v_cndmask_b32_e32 v8, 1.0, v8, vcc
	v_cmp_class_f32_e64 vcc, v5, s9
	v_cndmask_b32_e32 v6, v6, v8, vcc
	v_cmp_eq_f32_e32 vcc, 0, v4
	v_cmp_gt_f32_e64 s[2:3], 0, v5
	s_xor_b64 s[2:3], s[2:3], vcc
	s_waitcnt vmcnt(0)
	v_cvt_f32_i32_e32 v7, v7
	v_cmp_class_f32_e64 s[10:11], v4, s9
	v_cndmask_b32_e64 v5, v9, 0, s[2:3]
	v_cndmask_b32_e64 v8, 0, v4, s[0:1]
	v_bfi_b32 v5, s20, v5, v8
	s_or_b64 vcc, vcc, s[10:11]
	v_cndmask_b32_e32 v5, v6, v5, vcc
	v_cmp_o_f32_e32 vcc, v4, v4
	v_cndmask_b32_e32 v4, v10, v5, vcc
	v_mul_f32_e32 v5, v4, v7
.LBB7_31:
	s_or_b64 exec, exec, s[6:7]
.LBB7_32:
	s_load_dwordx2 s[0:1], s[4:5], 0x58
	v_lshlrev_b64 v[3:4], 2, v[2:3]
	s_waitcnt lgkmcnt(0)
	v_mov_b32_e32 v6, s1
	v_add_co_u32_e32 v3, vcc, s0, v3
	v_addc_co_u32_e32 v4, vcc, v6, v4, vcc
	global_load_dword v3, v[3:4], off
	s_waitcnt vmcnt(0)
	v_div_scale_f32 v4, s[0:1], v3, v3, v5
	v_div_scale_f32 v6, vcc, v5, v3, v5
	v_cmp_eq_f32_e64 s[0:1], s13, 0
	v_rcp_f32_e32 v7, v4
	v_fma_f32 v8, -v4, v7, 1.0
	v_fmac_f32_e32 v7, v8, v7
	v_mul_f32_e32 v8, v6, v7
	v_fma_f32 v9, -v4, v8, v6
	v_fmac_f32_e32 v8, v9, v7
	v_fma_f32 v4, -v4, v8, v6
	v_div_fmas_f32 v6, v4, v7, v8
	s_and_b64 vcc, exec, s[0:1]
	v_div_fixup_f32 v5, v6, v3, v5
	v_mul_f32_e32 v3, s12, v5
	s_cbranch_vccnz .LBB7_34
; %bb.33:
	v_cvt_f32_i32_e32 v2, v2
	v_div_scale_f32 v6, s[0:1], s12, s12, 1.0
	v_mov_b32_e32 v4, s15
	v_sub_f32_e32 v4, s8, v4
	v_subrev_f32_e32 v2, s15, v2
	v_max_f32_e32 v4, 0x3a83126f, v4
	v_div_scale_f32 v7, s[0:1], v4, v4, v2
	v_div_scale_f32 v8, s[0:1], 1.0, s12, 1.0
	v_div_scale_f32 v9, vcc, v2, v4, v2
	s_mov_b32 s2, 0x3f317217
	s_mov_b32 s3, 0x7f800000
	v_rcp_f32_e32 v10, v6
	v_fma_f32 v11, -v6, v10, 1.0
	v_fmac_f32_e32 v10, v11, v10
	v_rcp_f32_e32 v12, v7
	v_mul_f32_e32 v11, v8, v10
	v_fma_f32 v13, -v6, v11, v8
	v_fmac_f32_e32 v11, v13, v10
	v_fma_f32 v13, -v7, v12, 1.0
	v_fmac_f32_e32 v12, v13, v12
	v_fma_f32 v6, -v6, v11, v8
	v_mul_f32_e32 v8, v9, v12
	v_fma_f32 v13, -v7, v8, v9
	v_fmac_f32_e32 v8, v13, v12
	v_fma_f32 v7, -v7, v8, v9
	v_div_fmas_f32 v7, v7, v12, v8
	s_mov_b64 vcc, s[0:1]
	v_div_fmas_f32 v6, v6, v10, v11
	s_mov_b32 s0, 0x800000
	v_mov_b32_e32 v8, 0x41b17218
	v_div_fixup_f32 v2, v7, v4, v2 clamp
	v_sub_f32_e32 v2, 1.0, v2
	v_div_fixup_f32 v4, v6, s12, 1.0
	v_cmp_gt_f32_e32 vcc, s0, v4
	s_and_b64 s[0:1], vcc, exec
	s_cselect_b32 s0, 32, 0
	v_ldexp_f32 v4, v4, s0
	v_log_f32_e32 v4, v4
	v_mul_f32_e32 v6, s13, v2
	v_fma_f32 v2, -s13, v2, 1.0
	v_mul_f32_e32 v3, v2, v3
	v_mul_f32_e32 v2, 0x3f317217, v4
	v_fma_f32 v2, v4, s2, -v2
	v_fmac_f32_e32 v2, 0x3377d1cf, v4
	v_cndmask_b32_e32 v7, 0, v8, vcc
	v_fmac_f32_e32 v2, 0x3f317217, v4
	v_cmp_lt_f32_e64 vcc, |v4|, s3
	v_cndmask_b32_e32 v2, v4, v2, vcc
	v_sub_f32_e32 v2, v2, v7
	s_mov_b32 s0, 0x3dcccccd
	v_fma_f32 v2, v2, s0, 1.0
	v_fmac_f32_e32 v3, v6, v5
	v_mul_f32_e32 v4, s14, v2
	s_branch .LBB7_35
.LBB7_34:
	v_mov_b32_e32 v4, s14
.LBB7_35:
	v_and_b32_e32 v5, 0x7fffffff, v3
	s_brev_b32 s0, 18
	v_cmp_nlt_f32_e64 s[6:7], |v3|, s0
	v_lshrrev_b32_e32 v2, 23, v5
                                        ; implicit-def: $vgpr7
                                        ; implicit-def: $vgpr6
	s_and_saveexec_b64 s[0:1], s[6:7]
	s_xor_b64 s[8:9], exec, s[0:1]
	s_cbranch_execz .LBB7_37
; %bb.36:
	v_and_b32_e32 v6, 0x7fffff, v5
	v_or_b32_e32 v15, 0x800000, v6
	s_mov_b32 s0, 0xfe5163ab
	v_mad_u64_u32 v[6:7], s[0:1], v15, s0, 0
	v_mov_b32_e32 v8, 0
	s_mov_b32 s0, 0x3c439041
	v_mad_u64_u32 v[9:10], s[0:1], v15, s0, v[7:8]
	s_mov_b32 s0, 0xdb629599
	v_add_u32_e32 v14, 0xffffff88, v2
	v_mov_b32_e32 v7, v10
	v_mad_u64_u32 v[10:11], s[0:1], v15, s0, v[7:8]
	s_mov_b32 s0, 0xf534ddc0
	v_not_b32_e32 v16, 63
	v_mov_b32_e32 v7, v11
	v_mad_u64_u32 v[11:12], s[0:1], v15, s0, v[7:8]
	s_mov_b32 s0, 0xfc2757d1
	v_cmp_lt_u32_e32 vcc, 63, v14
	v_mov_b32_e32 v7, v12
	v_mad_u64_u32 v[12:13], s[0:1], v15, s0, v[7:8]
	v_cndmask_b32_e32 v7, 0, v16, vcc
	v_add_u32_e32 v16, v7, v14
	v_mov_b32_e32 v7, v13
	s_mov_b32 s0, 0x4e441529
	v_mad_u64_u32 v[13:14], s[0:1], v15, s0, v[7:8]
	v_not_b32_e32 v17, 31
	v_cmp_lt_u32_e64 s[0:1], 31, v16
	v_cndmask_b32_e64 v7, 0, v17, s[0:1]
	v_add_u32_e32 v16, v7, v16
	v_mov_b32_e32 v7, v14
	s_mov_b32 s2, 0xa2f9836e
	v_mad_u64_u32 v[7:8], s[2:3], v15, s2, v[7:8]
	v_cmp_lt_u32_e64 s[2:3], 31, v16
	v_cndmask_b32_e64 v14, 0, v17, s[2:3]
	v_cndmask_b32_e32 v15, v13, v11, vcc
	v_cndmask_b32_e32 v7, v7, v12, vcc
	;; [unrolled: 1-line block ×3, first 2 shown]
	v_add_u32_e32 v14, v14, v16
	v_cndmask_b32_e64 v16, v7, v15, s[0:1]
	v_cndmask_b32_e64 v7, v8, v7, s[0:1]
	v_cndmask_b32_e32 v8, v12, v10, vcc
	v_cndmask_b32_e64 v12, v15, v8, s[0:1]
	v_cndmask_b32_e32 v9, v11, v9, vcc
	v_cndmask_b32_e64 v7, v7, v16, s[2:3]
	v_cndmask_b32_e64 v13, v16, v12, s[2:3]
	v_sub_u32_e32 v15, 32, v14
	v_cndmask_b32_e64 v8, v8, v9, s[0:1]
	v_alignbit_b32 v16, v7, v13, v15
	v_cmp_eq_u32_e64 s[4:5], 0, v14
	v_cndmask_b32_e64 v11, v12, v8, s[2:3]
	v_cndmask_b32_e64 v7, v16, v7, s[4:5]
	v_alignbit_b32 v12, v13, v11, v15
	v_cndmask_b32_e32 v6, v10, v6, vcc
	v_cndmask_b32_e64 v12, v12, v13, s[4:5]
	v_bfe_u32 v16, v7, 29, 1
	v_cndmask_b32_e64 v6, v9, v6, s[0:1]
	v_alignbit_b32 v13, v7, v12, 30
	v_sub_u32_e32 v17, 0, v16
	v_cndmask_b32_e64 v6, v8, v6, s[2:3]
	v_xor_b32_e32 v13, v13, v17
	v_alignbit_b32 v8, v11, v6, v15
	v_cndmask_b32_e64 v8, v8, v11, s[4:5]
	v_ffbh_u32_e32 v10, v13
	v_alignbit_b32 v9, v12, v8, 30
	v_min_u32_e32 v10, 32, v10
	v_alignbit_b32 v6, v8, v6, 30
	v_xor_b32_e32 v9, v9, v17
	v_sub_u32_e32 v11, 31, v10
	v_xor_b32_e32 v6, v6, v17
	v_alignbit_b32 v12, v13, v9, v11
	v_alignbit_b32 v6, v9, v6, v11
	;; [unrolled: 1-line block ×3, first 2 shown]
	v_ffbh_u32_e32 v9, v8
	v_min_u32_e32 v9, 32, v9
	v_lshrrev_b32_e32 v14, 29, v7
	v_not_b32_e32 v11, v9
	v_alignbit_b32 v6, v8, v6, v11
	v_lshlrev_b32_e32 v8, 31, v14
	v_or_b32_e32 v11, 0x33000000, v8
	v_add_lshl_u32 v9, v9, v10, 23
	v_lshrrev_b32_e32 v6, 9, v6
	v_sub_u32_e32 v9, v11, v9
	v_or_b32_e32 v8, 0.5, v8
	v_lshlrev_b32_e32 v10, 23, v10
	v_or_b32_e32 v6, v9, v6
	v_lshrrev_b32_e32 v9, 9, v12
	v_sub_u32_e32 v8, v8, v10
	v_or_b32_e32 v8, v9, v8
	s_mov_b32 s0, 0x3fc90fda
	v_mul_f32_e32 v9, 0x3fc90fda, v8
	v_fma_f32 v10, v8, s0, -v9
	v_fmac_f32_e32 v10, 0x33a22168, v8
	v_fmac_f32_e32 v10, 0x3fc90fda, v6
	v_lshrrev_b32_e32 v7, 30, v7
	v_add_f32_e32 v6, v9, v10
	v_add_u32_e32 v7, v16, v7
	s_andn2_saveexec_b64 s[0:1], s[8:9]
	s_cbranch_execz .LBB7_39
	s_branch .LBB7_38
.LBB7_37:
	s_andn2_saveexec_b64 s[0:1], s[8:9]
	s_cbranch_execz .LBB7_39
.LBB7_38:
	s_mov_b32 s2, 0x3f22f983
	v_mul_f32_e64 v6, |v3|, s2
	v_rndne_f32_e32 v8, v6
	s_mov_b32 s2, 0xbfc90fda
	v_cvt_i32_f32_e32 v7, v8
	v_fma_f32 v6, v8, s2, |v3|
	v_fmac_f32_e32 v6, 0xb3a22168, v8
	v_fmac_f32_e32 v6, 0xa7c234c4, v8
.LBB7_39:
	s_or_b64 exec, exec, s[0:1]
                                        ; implicit-def: $vgpr9
                                        ; implicit-def: $vgpr8
	s_and_saveexec_b64 s[0:1], s[6:7]
	s_xor_b64 s[6:7], exec, s[0:1]
	s_cbranch_execz .LBB7_41
; %bb.40:
	v_and_b32_e32 v8, 0x7fffff, v5
	v_or_b32_e32 v17, 0x800000, v8
	s_mov_b32 s0, 0xfe5163ab
	v_mad_u64_u32 v[8:9], s[0:1], v17, s0, 0
	v_mov_b32_e32 v10, 0
	s_mov_b32 s0, 0x3c439041
	v_mad_u64_u32 v[11:12], s[0:1], v17, s0, v[9:10]
	s_mov_b32 s0, 0xdb629599
	v_add_u32_e32 v2, 0xffffff88, v2
	v_mov_b32_e32 v9, v12
	v_mad_u64_u32 v[12:13], s[0:1], v17, s0, v[9:10]
	s_mov_b32 s0, 0xf534ddc0
	v_not_b32_e32 v16, 63
	v_mov_b32_e32 v9, v13
	v_mad_u64_u32 v[13:14], s[0:1], v17, s0, v[9:10]
	s_mov_b32 s0, 0xfc2757d1
	v_cmp_lt_u32_e32 vcc, 63, v2
	v_mov_b32_e32 v9, v14
	v_mad_u64_u32 v[14:15], s[0:1], v17, s0, v[9:10]
	v_cndmask_b32_e32 v9, 0, v16, vcc
	v_add_u32_e32 v2, v9, v2
	v_mov_b32_e32 v9, v15
	s_mov_b32 s0, 0x4e441529
	v_mad_u64_u32 v[15:16], s[0:1], v17, s0, v[9:10]
	v_not_b32_e32 v18, 31
	v_cmp_lt_u32_e64 s[0:1], 31, v2
	v_cndmask_b32_e64 v9, 0, v18, s[0:1]
	v_add_u32_e32 v2, v9, v2
	v_mov_b32_e32 v9, v16
	s_mov_b32 s2, 0xa2f9836e
	v_mad_u64_u32 v[9:10], s[2:3], v17, s2, v[9:10]
	v_cmp_lt_u32_e64 s[2:3], 31, v2
	v_cndmask_b32_e64 v16, 0, v18, s[2:3]
	v_add_u32_e32 v2, v16, v2
	v_cndmask_b32_e32 v16, v15, v13, vcc
	v_cndmask_b32_e32 v9, v9, v14, vcc
	;; [unrolled: 1-line block ×3, first 2 shown]
	v_cndmask_b32_e64 v17, v9, v16, s[0:1]
	v_cndmask_b32_e64 v9, v10, v9, s[0:1]
	v_cndmask_b32_e32 v10, v14, v12, vcc
	v_cndmask_b32_e64 v14, v16, v10, s[0:1]
	v_cndmask_b32_e64 v9, v9, v17, s[2:3]
	;; [unrolled: 1-line block ×3, first 2 shown]
	v_sub_u32_e32 v16, 32, v2
	v_alignbit_b32 v17, v9, v15, v16
	v_cmp_eq_u32_e64 s[4:5], 0, v2
	v_cndmask_b32_e64 v2, v17, v9, s[4:5]
	v_cndmask_b32_e32 v9, v13, v11, vcc
	v_cndmask_b32_e64 v10, v10, v9, s[0:1]
	v_cndmask_b32_e64 v11, v14, v10, s[2:3]
	v_alignbit_b32 v13, v15, v11, v16
	v_cndmask_b32_e32 v8, v12, v8, vcc
	v_cndmask_b32_e64 v13, v13, v15, s[4:5]
	v_bfe_u32 v17, v2, 29, 1
	v_cndmask_b32_e64 v8, v9, v8, s[0:1]
	v_alignbit_b32 v14, v2, v13, 30
	v_sub_u32_e32 v18, 0, v17
	v_cndmask_b32_e64 v8, v10, v8, s[2:3]
	v_xor_b32_e32 v14, v14, v18
	v_alignbit_b32 v9, v11, v8, v16
	v_cndmask_b32_e64 v9, v9, v11, s[4:5]
	v_ffbh_u32_e32 v11, v14
	v_alignbit_b32 v10, v13, v9, 30
	v_min_u32_e32 v11, 32, v11
	v_alignbit_b32 v8, v9, v8, 30
	v_xor_b32_e32 v10, v10, v18
	v_sub_u32_e32 v12, 31, v11
	v_xor_b32_e32 v8, v8, v18
	v_alignbit_b32 v13, v14, v10, v12
	v_alignbit_b32 v8, v10, v8, v12
	;; [unrolled: 1-line block ×3, first 2 shown]
	v_ffbh_u32_e32 v10, v9
	v_min_u32_e32 v10, 32, v10
	v_lshrrev_b32_e32 v15, 29, v2
	v_not_b32_e32 v12, v10
	v_alignbit_b32 v8, v9, v8, v12
	v_lshlrev_b32_e32 v9, 31, v15
	v_or_b32_e32 v12, 0x33000000, v9
	v_add_lshl_u32 v10, v10, v11, 23
	v_lshrrev_b32_e32 v8, 9, v8
	v_sub_u32_e32 v10, v12, v10
	v_or_b32_e32 v9, 0.5, v9
	v_lshlrev_b32_e32 v11, 23, v11
	v_or_b32_e32 v8, v10, v8
	v_lshrrev_b32_e32 v10, 9, v13
	v_sub_u32_e32 v9, v9, v11
	v_or_b32_e32 v9, v10, v9
	s_mov_b32 s0, 0x3fc90fda
	v_mul_f32_e32 v10, 0x3fc90fda, v9
	v_fma_f32 v11, v9, s0, -v10
	v_fmac_f32_e32 v11, 0x33a22168, v9
	v_fmac_f32_e32 v11, 0x3fc90fda, v8
	v_lshrrev_b32_e32 v2, 30, v2
	v_add_f32_e32 v8, v10, v11
	v_add_u32_e32 v9, v17, v2
	s_andn2_saveexec_b64 s[0:1], s[6:7]
	s_cbranch_execnz .LBB7_42
	s_branch .LBB7_43
.LBB7_41:
	s_andn2_saveexec_b64 s[0:1], s[6:7]
	s_cbranch_execz .LBB7_43
.LBB7_42:
	s_mov_b32 s2, 0x3f22f983
	v_mul_f32_e64 v2, |v3|, s2
	v_rndne_f32_e32 v2, v2
	s_mov_b32 s2, 0xbfc90fda
	v_cvt_i32_f32_e32 v9, v2
	v_fma_f32 v8, v2, s2, |v3|
	v_fmac_f32_e32 v8, 0xb3a22168, v2
	v_fmac_f32_e32 v8, 0xa7c234c4, v2
.LBB7_43:
	s_or_b64 exec, exec, s[0:1]
	v_ashrrev_i32_e32 v2, 31, v1
	s_lshr_b32 s0, s25, 31
	v_lshlrev_b64 v[1:2], 2, v[1:2]
	s_add_i32 s0, s25, s0
	s_ashr_i32 s0, s0, 1
	v_mov_b32_e32 v10, s17
	v_add_co_u32_e32 v1, vcc, s16, v1
	s_ashr_i32 s1, s0, 31
	v_addc_co_u32_e32 v2, vcc, v10, v2, vcc
	s_lshl_b64 s[0:1], s[0:1], 2
	v_mov_b32_e32 v12, s1
	v_add_co_u32_e32 v10, vcc, s0, v1
	v_addc_co_u32_e32 v11, vcc, v2, v12, vcc
	global_load_dword v13, v[1:2], off
	global_load_dword v14, v[10:11], off
	v_ashrrev_i32_e32 v1, 31, v0
	v_lshlrev_b64 v[0:1], 2, v[0:1]
	v_mov_b32_e32 v17, s19
	v_add_co_u32_e32 v0, vcc, s18, v0
	v_mul_f32_e32 v2, v6, v6
	v_mov_b32_e32 v16, 0xbab64f3b
	v_addc_co_u32_e32 v1, vcc, v17, v1, vcc
	v_mov_b32_e32 v17, 0xbab64f3b
	v_mul_f32_e32 v19, v8, v8
	v_mov_b32_e32 v10, 0x3c0881c4
	v_mov_b32_e32 v11, 0x3c0881c4
	;; [unrolled: 1-line block ×3, first 2 shown]
	v_fmac_f32_e32 v17, 0x37d75334, v2
	v_fmac_f32_e32 v16, 0x37d75334, v19
	v_mov_b32_e32 v15, 0xbe2aaa9d
	v_fmac_f32_e32 v11, 0xb94c1982, v2
	v_fmac_f32_e32 v10, 0xb94c1982, v19
	v_fma_f32 v17, v2, v17, v18
	v_fmac_f32_e32 v18, v19, v16
	v_lshlrev_b32_e32 v16, 30, v9
	v_fma_f32 v11, v2, v11, v15
	v_fmac_f32_e32 v15, v19, v10
	v_mov_b32_e32 v10, 0xbf000004
	v_xor_b32_e32 v5, v5, v3
	v_and_b32_e32 v16, 0x80000000, v16
	v_xor_b32_e32 v5, v5, v16
	v_and_b32_e32 v16, 1, v7
	v_fma_f32 v17, v2, v17, v10
	v_mul_f32_e32 v11, v2, v11
	v_fmac_f32_e32 v10, v19, v18
	v_and_b32_e32 v9, 1, v9
	v_mul_f32_e32 v15, v19, v15
	v_fmac_f32_e32 v6, v6, v11
	v_fma_f32 v2, v2, v17, 1.0
	v_cmp_eq_u32_e32 vcc, 0, v16
	v_lshlrev_b32_e32 v7, 30, v7
	v_fmac_f32_e32 v8, v8, v15
	v_fma_f32 v10, v19, v10, 1.0
	v_cndmask_b32_e64 v2, -v6, v2, vcc
	v_cmp_eq_u32_e32 vcc, 0, v9
	v_and_b32_e32 v7, 0x80000000, v7
	v_cndmask_b32_e32 v6, v10, v8, vcc
	v_xor_b32_e32 v2, v7, v2
	v_xor_b32_e32 v7, v5, v6
	v_add_co_u32_e32 v5, vcc, s0, v0
	s_movk_i32 s1, 0x1f8
	v_addc_co_u32_e32 v6, vcc, v1, v12, vcc
	v_mov_b32_e32 v18, 0x7fc00000
	v_cmp_class_f32_e64 vcc, v3, s1
	v_cndmask_b32_e32 v3, v18, v7, vcc
	v_cndmask_b32_e32 v2, v18, v2, vcc
	v_mul_f32_e32 v3, v4, v3
	v_mul_f32_e32 v2, v4, v2
	s_waitcnt vmcnt(1)
	v_mul_f32_e32 v4, v13, v3
	s_waitcnt vmcnt(0)
	v_mul_f32_e32 v3, v14, v3
	v_fmac_f32_e32 v4, v2, v14
	v_fma_f32 v2, v2, v13, -v3
	global_store_dword v[0:1], v2, off
	global_store_dword v[5:6], v4, off
.LBB7_44:
	s_endpgm
	.section	.rodata,"a",@progbits
	.p2align	6, 0x0
	.amdhsa_kernel _ZL10rope_multiILb1ELb1EfEvPKT1_PS0_iiiiiiiiiiPKifff14rope_corr_dimsfPKf14mrope_sectionsb
		.amdhsa_group_segment_fixed_size 0
		.amdhsa_private_segment_fixed_size 0
		.amdhsa_kernarg_size 376
		.amdhsa_user_sgpr_count 6
		.amdhsa_user_sgpr_private_segment_buffer 1
		.amdhsa_user_sgpr_dispatch_ptr 0
		.amdhsa_user_sgpr_queue_ptr 0
		.amdhsa_user_sgpr_kernarg_segment_ptr 1
		.amdhsa_user_sgpr_dispatch_id 0
		.amdhsa_user_sgpr_flat_scratch_init 0
		.amdhsa_user_sgpr_private_segment_size 0
		.amdhsa_uses_dynamic_stack 0
		.amdhsa_system_sgpr_private_segment_wavefront_offset 0
		.amdhsa_system_sgpr_workgroup_id_x 1
		.amdhsa_system_sgpr_workgroup_id_y 1
		.amdhsa_system_sgpr_workgroup_id_z 0
		.amdhsa_system_sgpr_workgroup_info 0
		.amdhsa_system_vgpr_workitem_id 1
		.amdhsa_next_free_vgpr 21
		.amdhsa_next_free_sgpr 36
		.amdhsa_reserve_vcc 1
		.amdhsa_reserve_flat_scratch 0
		.amdhsa_float_round_mode_32 0
		.amdhsa_float_round_mode_16_64 0
		.amdhsa_float_denorm_mode_32 3
		.amdhsa_float_denorm_mode_16_64 3
		.amdhsa_dx10_clamp 1
		.amdhsa_ieee_mode 1
		.amdhsa_fp16_overflow 0
		.amdhsa_exception_fp_ieee_invalid_op 0
		.amdhsa_exception_fp_denorm_src 0
		.amdhsa_exception_fp_ieee_div_zero 0
		.amdhsa_exception_fp_ieee_overflow 0
		.amdhsa_exception_fp_ieee_underflow 0
		.amdhsa_exception_fp_ieee_inexact 0
		.amdhsa_exception_int_div_zero 0
	.end_amdhsa_kernel
	.section	.text._ZL10rope_multiILb1ELb1EfEvPKT1_PS0_iiiiiiiiiiPKifff14rope_corr_dimsfPKf14mrope_sectionsb,"axG",@progbits,_ZL10rope_multiILb1ELb1EfEvPKT1_PS0_iiiiiiiiiiPKifff14rope_corr_dimsfPKf14mrope_sectionsb,comdat
.Lfunc_end7:
	.size	_ZL10rope_multiILb1ELb1EfEvPKT1_PS0_iiiiiiiiiiPKifff14rope_corr_dimsfPKf14mrope_sectionsb, .Lfunc_end7-_ZL10rope_multiILb1ELb1EfEvPKT1_PS0_iiiiiiiiiiPKifff14rope_corr_dimsfPKf14mrope_sectionsb
                                        ; -- End function
	.set _ZL10rope_multiILb1ELb1EfEvPKT1_PS0_iiiiiiiiiiPKifff14rope_corr_dimsfPKf14mrope_sectionsb.num_vgpr, 21
	.set _ZL10rope_multiILb1ELb1EfEvPKT1_PS0_iiiiiiiiiiPKifff14rope_corr_dimsfPKf14mrope_sectionsb.num_agpr, 0
	.set _ZL10rope_multiILb1ELb1EfEvPKT1_PS0_iiiiiiiiiiPKifff14rope_corr_dimsfPKf14mrope_sectionsb.numbered_sgpr, 36
	.set _ZL10rope_multiILb1ELb1EfEvPKT1_PS0_iiiiiiiiiiPKifff14rope_corr_dimsfPKf14mrope_sectionsb.num_named_barrier, 0
	.set _ZL10rope_multiILb1ELb1EfEvPKT1_PS0_iiiiiiiiiiPKifff14rope_corr_dimsfPKf14mrope_sectionsb.private_seg_size, 0
	.set _ZL10rope_multiILb1ELb1EfEvPKT1_PS0_iiiiiiiiiiPKifff14rope_corr_dimsfPKf14mrope_sectionsb.uses_vcc, 1
	.set _ZL10rope_multiILb1ELb1EfEvPKT1_PS0_iiiiiiiiiiPKifff14rope_corr_dimsfPKf14mrope_sectionsb.uses_flat_scratch, 0
	.set _ZL10rope_multiILb1ELb1EfEvPKT1_PS0_iiiiiiiiiiPKifff14rope_corr_dimsfPKf14mrope_sectionsb.has_dyn_sized_stack, 0
	.set _ZL10rope_multiILb1ELb1EfEvPKT1_PS0_iiiiiiiiiiPKifff14rope_corr_dimsfPKf14mrope_sectionsb.has_recursion, 0
	.set _ZL10rope_multiILb1ELb1EfEvPKT1_PS0_iiiiiiiiiiPKifff14rope_corr_dimsfPKf14mrope_sectionsb.has_indirect_call, 0
	.section	.AMDGPU.csdata,"",@progbits
; Kernel info:
; codeLenInByte = 10268
; TotalNumSgprs: 40
; NumVgprs: 21
; ScratchSize: 0
; MemoryBound: 0
; FloatMode: 240
; IeeeMode: 1
; LDSByteSize: 0 bytes/workgroup (compile time only)
; SGPRBlocks: 4
; VGPRBlocks: 5
; NumSGPRsForWavesPerEU: 40
; NumVGPRsForWavesPerEU: 21
; Occupancy: 10
; WaveLimiterHint : 0
; COMPUTE_PGM_RSRC2:SCRATCH_EN: 0
; COMPUTE_PGM_RSRC2:USER_SGPR: 6
; COMPUTE_PGM_RSRC2:TRAP_HANDLER: 0
; COMPUTE_PGM_RSRC2:TGID_X_EN: 1
; COMPUTE_PGM_RSRC2:TGID_Y_EN: 1
; COMPUTE_PGM_RSRC2:TGID_Z_EN: 0
; COMPUTE_PGM_RSRC2:TIDIG_COMP_CNT: 1
	.section	.text._ZL10rope_multiILb1ELb0E6__halfEvPKT1_PS1_iiiiiiiiiiPKifff14rope_corr_dimsfPKf14mrope_sectionsb,"axG",@progbits,_ZL10rope_multiILb1ELb0E6__halfEvPKT1_PS1_iiiiiiiiiiPKifff14rope_corr_dimsfPKf14mrope_sectionsb,comdat
	.globl	_ZL10rope_multiILb1ELb0E6__halfEvPKT1_PS1_iiiiiiiiiiPKifff14rope_corr_dimsfPKf14mrope_sectionsb ; -- Begin function _ZL10rope_multiILb1ELb0E6__halfEvPKT1_PS1_iiiiiiiiiiPKifff14rope_corr_dimsfPKf14mrope_sectionsb
	.p2align	8
	.type	_ZL10rope_multiILb1ELb0E6__halfEvPKT1_PS1_iiiiiiiiiiPKifff14rope_corr_dimsfPKf14mrope_sectionsb,@function
_ZL10rope_multiILb1ELb0E6__halfEvPKT1_PS1_iiiiiiiiiiPKifff14rope_corr_dimsfPKf14mrope_sectionsb: ; @_ZL10rope_multiILb1ELb0E6__halfEvPKT1_PS1_iiiiiiiiiiPKifff14rope_corr_dimsfPKf14mrope_sectionsb
; %bb.0:
	s_load_dword s2, s[4:5], 0x84
	s_load_dwordx8 s[8:15], s[4:5], 0x10
	s_add_u32 s0, s4, 0x78
	s_addc_u32 s1, s5, 0
	s_waitcnt lgkmcnt(0)
	s_lshr_b32 s2, s2, 16
	s_mul_i32 s7, s7, s2
	v_add_lshl_u32 v5, s7, v1, 1
	v_cmp_gt_i32_e32 vcc, s8, v5
	s_and_saveexec_b64 s[2:3], vcc
	s_cbranch_execz .LBB8_44
; %bb.1:
	s_mul_i32 s2, s10, s9
	s_abs_i32 s3, s2
	v_cvt_f32_u32_e32 v1, s3
	s_load_dword s0, s[0:1], 0xc
	s_sub_i32 s1, 0, s3
	v_cvt_f32_u32_e32 v2, s9
	v_rcp_iflag_f32_e32 v1, v1
	s_waitcnt lgkmcnt(0)
	s_and_b32 s0, s0, 0xffff
	s_mul_i32 s6, s6, s0
	v_mul_f32_e32 v1, 0x4f7ffffe, v1
	v_cvt_u32_f32_e32 v1, v1
	v_add_u32_e32 v0, s6, v0
	v_sub_u32_e32 v4, 0, v0
	v_max_i32_e32 v4, v0, v4
	v_mul_lo_u32 v3, s1, v1
	v_rcp_iflag_f32_e32 v2, v2
	s_sub_i32 s0, 0, s9
	v_xor_b32_e32 v6, s2, v0
	v_mul_hi_u32 v3, v1, v3
	v_mul_f32_e32 v2, 0x4f7ffffe, v2
	v_cvt_u32_f32_e32 v2, v2
	v_ashrrev_i32_e32 v6, 31, v6
	v_add_u32_e32 v1, v1, v3
	v_mul_hi_u32 v1, v4, v1
	v_mul_lo_u32 v3, s0, v2
	s_load_dwordx2 s[6:7], s[4:5], 0x30
	s_load_dwordx4 s[16:19], s[4:5], 0x0
	v_mul_lo_u32 v7, v1, s3
	v_add_u32_e32 v8, 1, v1
	v_mul_hi_u32 v3, v2, v3
	v_sub_u32_e32 v4, v4, v7
	v_cmp_le_u32_e32 vcc, s3, v4
	v_subrev_u32_e32 v7, s3, v4
	v_cndmask_b32_e32 v1, v1, v8, vcc
	v_cndmask_b32_e32 v4, v4, v7, vcc
	v_add_u32_e32 v7, 1, v1
	v_cmp_le_u32_e32 vcc, s3, v4
	v_cndmask_b32_e32 v1, v1, v7, vcc
	v_xor_b32_e32 v1, v1, v6
	v_sub_u32_e32 v4, v1, v6
	v_mul_lo_u32 v1, s2, v4
	v_add_u32_e32 v2, v2, v3
	v_sub_u32_e32 v6, v0, v1
	v_mul_hi_u32 v0, v6, v2
	v_ashrrev_i32_e32 v2, 1, v5
	v_mul_lo_u32 v1, v0, s9
	v_add_u32_e32 v3, 1, v0
	v_sub_u32_e32 v1, v6, v1
	v_cmp_le_u32_e32 vcc, s9, v1
	v_cndmask_b32_e32 v0, v0, v3, vcc
	v_subrev_u32_e32 v3, s9, v1
	v_cndmask_b32_e32 v1, v1, v3, vcc
	v_add_u32_e32 v3, 1, v0
	v_cmp_le_u32_e32 vcc, s9, v1
	v_cndmask_b32_e32 v3, v0, v3, vcc
	v_mul_lo_u32 v7, v3, s9
	s_waitcnt lgkmcnt(0)
	v_mad_u64_u32 v[0:1], s[0:1], v4, s6, v[2:3]
	v_mul_lo_u32 v1, v3, s15
	v_sub_u32_e32 v6, v6, v7
	v_mul_lo_u32 v8, v6, s14
	v_mul_lo_u32 v9, v6, s11
	;; [unrolled: 1-line block ×3, first 2 shown]
	v_mad_u64_u32 v[6:7], s[0:1], v4, s13, v[2:3]
	v_add3_u32 v0, v0, v1, v8
	v_cmp_le_i32_e32 vcc, s7, v5
	v_add3_u32 v1, v6, v10, v9
	s_and_saveexec_b64 s[0:1], vcc
	s_xor_b64 s[0:1], exec, s[0:1]
	s_cbranch_execz .LBB8_3
; %bb.2:
	v_add_u32_e32 v3, v1, v2
	v_ashrrev_i32_e32 v4, 31, v3
	v_lshlrev_b64 v[3:4], 1, v[3:4]
	v_mov_b32_e32 v1, s17
	v_add_co_u32_e32 v3, vcc, s16, v3
	v_addc_co_u32_e32 v4, vcc, v1, v4, vcc
	global_load_ushort v5, v[3:4], off
	v_add_u32_e32 v0, v0, v2
	v_ashrrev_i32_e32 v1, 31, v0
	v_lshlrev_b64 v[0:1], 1, v[0:1]
	v_mov_b32_e32 v2, s19
	v_add_co_u32_e32 v0, vcc, s18, v0
	v_addc_co_u32_e32 v1, vcc, v2, v1, vcc
	s_waitcnt vmcnt(0)
	global_store_short v[0:1], v5, off
	global_load_ushort v2, v[3:4], off offset:2
                                        ; implicit-def: $vgpr3
                                        ; implicit-def: $vgpr5
	s_waitcnt vmcnt(0)
	global_store_short v[0:1], v2, off offset:2
                                        ; implicit-def: $vgpr1
                                        ; implicit-def: $vgpr0
                                        ; implicit-def: $vgpr2
.LBB8_3:
	s_andn2_saveexec_b64 s[0:1], s[0:1]
	s_cbranch_execz .LBB8_44
; %bb.4:
	s_load_dwordx4 s[20:23], s[4:5], 0x60
	s_load_dwordx2 s[8:9], s[4:5], 0x50
	v_sub_u32_e32 v7, 0, v2
	v_max_i32_e32 v7, v2, v7
	s_waitcnt lgkmcnt(0)
	s_add_i32 s1, s21, s20
	s_add_i32 s0, s1, s22
	;; [unrolled: 1-line block ×3, first 2 shown]
	s_abs_i32 s2, s2
	v_cvt_f32_u32_e32 v4, s2
	s_sub_i32 s3, 0, s2
	v_rcp_iflag_f32_e32 v4, v4
	v_mul_f32_e32 v4, 0x4f7ffffe, v4
	v_cvt_u32_f32_e32 v4, v4
	v_mul_lo_u32 v6, s3, v4
	s_load_dword s3, s[4:5], 0x70
	s_load_dwordx2 s[24:25], s[4:5], 0x38
	s_load_dwordx4 s[12:15], s[4:5], 0x40
	s_waitcnt lgkmcnt(0)
	s_and_b32 s3, s3, 1
	v_mul_hi_u32 v6, v4, v6
	s_cmp_eq_u32 s3, 0
	v_add_u32_e32 v4, v4, v6
	v_mul_hi_u32 v4, v7, v4
	v_ashrrev_i32_e32 v6, 31, v2
	v_mul_lo_u32 v4, v4, s2
	v_sub_u32_e32 v4, v7, v4
	v_subrev_u32_e32 v7, s2, v4
	v_cmp_le_u32_e32 vcc, s2, v4
	v_cndmask_b32_e32 v4, v4, v7, vcc
	v_subrev_u32_e32 v7, s2, v4
	v_cmp_le_u32_e32 vcc, s2, v4
	v_cndmask_b32_e32 v4, v4, v7, vcc
	v_xor_b32_e32 v4, v4, v6
	v_sub_u32_e32 v6, v4, v6
	s_cbranch_scc0 .LBB8_20
; %bb.5:
	v_cmp_le_i32_e32 vcc, s20, v6
                                        ; implicit-def: $vgpr7
	s_and_saveexec_b64 s[2:3], vcc
	s_xor_b64 s[26:27], exec, s[2:3]
	s_cbranch_execz .LBB8_15
; %bb.6:
	v_cmp_le_i32_e32 vcc, s1, v6
                                        ; implicit-def: $vgpr7
	s_and_saveexec_b64 s[2:3], vcc
	s_xor_b64 s[28:29], exec, s[2:3]
	s_cbranch_execz .LBB8_12
; %bb.7:
	v_cvt_f32_i32_e32 v4, v5
	v_cmp_le_i32_e32 vcc, s0, v6
	v_cmp_neq_f32_e64 s[0:1], s9, 1.0
	v_mov_b32_e32 v8, s9
	v_mul_f32_e32 v4, 0.5, v4
	v_cndmask_b32_e64 v7, 1.0, v4, s[0:1]
	v_cmp_neq_f32_e64 s[0:1], 0, v7
	v_cndmask_b32_e64 v4, 1.0, v8, s[0:1]
	v_frexp_mant_f32_e64 v8, |v4|
	s_mov_b32 s0, 0x3f2aaaab
	v_cmp_gt_f32_e64 s[0:1], s0, v8
	v_cndmask_b32_e64 v9, 1.0, 2.0, s[0:1]
	v_mul_f32_e32 v8, v8, v9
	v_add_f32_e32 v9, 1.0, v8
	v_rcp_f32_e32 v10, v9
	v_add_f32_e32 v11, -1.0, v8
	v_add_f32_e32 v12, -1.0, v9
	v_sub_f32_e32 v8, v8, v12
	v_mul_f32_e32 v12, v11, v10
	v_mul_f32_e32 v13, v9, v12
	v_fma_f32 v9, v12, v9, -v13
	v_fmac_f32_e32 v9, v12, v8
	v_add_f32_e32 v8, v13, v9
	v_sub_f32_e32 v14, v11, v8
	v_sub_f32_e32 v13, v8, v13
	;; [unrolled: 1-line block ×5, first 2 shown]
	v_add_f32_e32 v8, v9, v8
	v_add_f32_e32 v8, v14, v8
	v_mul_f32_e32 v8, v10, v8
	v_add_f32_e32 v10, v12, v8
	v_sub_f32_e32 v9, v10, v12
	v_sub_f32_e32 v11, v8, v9
	v_mul_f32_e32 v8, v10, v10
	v_fma_f32 v9, v10, v10, -v8
	v_add_f32_e32 v12, v11, v11
	v_fmac_f32_e32 v9, v10, v12
	v_add_f32_e32 v12, v8, v9
	v_mov_b32_e32 v13, 0x3e91f4c4
	v_sub_f32_e32 v8, v12, v8
	v_fmac_f32_e32 v13, 0x3e76c4e1, v12
	v_mov_b32_e32 v14, 0x3ecccdef
	v_sub_f32_e32 v8, v9, v8
	v_mul_f32_e32 v9, v10, v12
	v_fmac_f32_e32 v14, v12, v13
	v_fma_f32 v13, v12, v10, -v9
	v_fmac_f32_e32 v13, v12, v11
	v_fmac_f32_e32 v13, v8, v10
	v_add_f32_e32 v15, v9, v13
	v_sub_f32_e32 v9, v15, v9
	v_sub_f32_e32 v13, v13, v9
	v_mul_f32_e32 v9, v12, v14
	v_fma_f32 v12, v12, v14, -v9
	v_fmac_f32_e32 v12, v8, v14
	v_add_f32_e32 v14, v9, v12
	v_sub_f32_e32 v8, v14, v9
	v_sub_f32_e32 v12, v12, v8
	v_cvt_f64_f32_e64 v[8:9], |v4|
	v_add_f32_e32 v16, 0x3f2aaaaa, v14
	v_add_f32_e32 v17, 0xbf2aaaaa, v16
	;; [unrolled: 1-line block ×3, first 2 shown]
	v_frexp_exp_i32_f64_e32 v8, v[8:9]
	v_sub_f32_e32 v14, v14, v17
	v_add_f32_e32 v9, v12, v14
	v_add_f32_e32 v12, v16, v9
	v_sub_f32_e32 v14, v16, v12
	v_add_f32_e32 v9, v9, v14
	v_mul_f32_e32 v14, v15, v12
	v_fma_f32 v16, v15, v12, -v14
	v_subbrev_co_u32_e64 v8, s[0:1], 0, v8, s[0:1]
	v_cvt_f32_i32_e32 v8, v8
	v_fmac_f32_e32 v16, v15, v9
	s_mov_b32 s0, 0x3f317218
	v_fmac_f32_e32 v16, v13, v12
	v_mul_f32_e32 v9, 0x3f317218, v8
	v_fma_f32 v12, v8, s0, -v9
	v_fmac_f32_e32 v12, 0xb102e308, v8
	v_ldexp_f32 v8, v11, 1
	v_add_f32_e32 v11, v9, v12
	v_sub_f32_e32 v9, v11, v9
	v_ldexp_f32 v10, v10, 1
	v_sub_f32_e32 v9, v12, v9
	v_add_f32_e32 v12, v14, v16
	v_sub_f32_e32 v13, v12, v14
	v_add_f32_e32 v14, v10, v12
	v_sub_f32_e32 v13, v16, v13
	v_sub_f32_e32 v10, v14, v10
	v_sub_f32_e32 v10, v12, v10
	v_add_f32_e32 v8, v8, v13
	v_add_f32_e32 v8, v8, v10
	;; [unrolled: 1-line block ×3, first 2 shown]
	v_sub_f32_e32 v12, v10, v14
	v_sub_f32_e32 v8, v8, v12
	v_add_f32_e32 v12, v11, v10
	v_sub_f32_e32 v13, v12, v11
	v_sub_f32_e32 v14, v12, v13
	;; [unrolled: 1-line block ×4, first 2 shown]
	v_add_f32_e32 v10, v10, v11
	v_add_f32_e32 v11, v9, v8
	v_sub_f32_e32 v13, v11, v9
	v_sub_f32_e32 v14, v11, v13
	;; [unrolled: 1-line block ×4, first 2 shown]
	v_add_f32_e32 v8, v8, v9
	v_add_f32_e32 v9, v11, v10
	;; [unrolled: 1-line block ×3, first 2 shown]
	v_sub_f32_e32 v11, v10, v12
	v_sub_f32_e32 v9, v9, v11
	v_add_f32_e32 v8, v8, v9
	v_add_f32_e32 v9, v10, v8
	v_sub_f32_e32 v10, v9, v10
	v_sub_f32_e32 v8, v8, v10
	v_mul_f32_e32 v10, v7, v9
	v_fma_f32 v9, v7, v9, -v10
	v_fmac_f32_e32 v9, v7, v8
	s_movk_i32 s6, 0x204
	v_add_f32_e32 v8, v10, v9
	v_cmp_class_f32_e64 s[0:1], v10, s6
	v_sub_f32_e32 v11, v8, v10
	v_cndmask_b32_e64 v8, v8, v10, s[0:1]
	s_mov_b32 s3, 0x42b17218
	v_mov_b32_e32 v10, 0x37000000
	v_cmp_eq_f32_e64 s[0:1], s3, v8
	v_cndmask_b32_e64 v10, 0, v10, s[0:1]
	v_sub_f32_e32 v9, v9, v11
	v_sub_f32_e32 v11, v8, v10
	s_mov_b32 s0, 0x3fb8aa3b
	v_mul_f32_e32 v12, 0x3fb8aa3b, v11
	v_fma_f32 v13, v11, s0, -v12
	v_rndne_f32_e32 v14, v12
	v_fmac_f32_e32 v13, 0x32a5705f, v11
	v_sub_f32_e32 v12, v12, v14
	v_add_f32_e32 v12, v12, v13
	v_exp_f32_e32 v12, v12
	v_cvt_i32_f32_e32 v13, v14
	s_mov_b32 s2, 0x7f800000
	v_cmp_neq_f32_e64 s[0:1], |v8|, s2
	v_cndmask_b32_e64 v8, 0, v9, s[0:1]
	s_mov_b32 s0, 0xc2ce8ed0
	v_ldexp_f32 v9, v12, v13
	v_cmp_ngt_f32_e64 s[0:1], s0, v11
	v_add_f32_e32 v8, v10, v8
	v_cndmask_b32_e64 v9, 0, v9, s[0:1]
	v_mov_b32_e32 v10, 0x7f800000
	v_cmp_nlt_f32_e64 s[0:1], s3, v11
	v_cndmask_b32_e64 v9, v10, v9, s[0:1]
	v_fma_f32 v8, v9, v8, v9
	v_cmp_class_f32_e64 s[0:1], v9, s6
	v_cndmask_b32_e64 v8, v8, v9, s[0:1]
	v_trunc_f32_e32 v9, v7
	v_cmp_eq_f32_e64 s[0:1], v9, v7
	v_mul_f32_e32 v9, 0.5, v7
	v_trunc_f32_e32 v12, v9
	v_cmp_neq_f32_e64 s[2:3], v12, v9
	s_and_b64 s[2:3], s[0:1], s[2:3]
	v_cndmask_b32_e64 v9, 1.0, v4, s[2:3]
	s_brev_b32 s11, -2
	v_mov_b32_e32 v11, 0x7fc00000
	v_bfi_b32 v8, s11, v8, v9
	v_cndmask_b32_e64 v9, v11, v8, s[0:1]
	v_cmp_gt_f32_e64 s[0:1], 0, v4
	v_cndmask_b32_e64 v8, v8, v9, s[0:1]
	v_cmp_neq_f32_e64 s[0:1], v7, |v7|
	v_cmp_lt_f32_e64 s[4:5], |v4|, 1.0
	s_xor_b64 s[0:1], s[0:1], s[4:5]
	v_cndmask_b32_e64 v9, v10, 0, s[0:1]
	v_cmp_neq_f32_e64 s[0:1], |v4|, 1.0
	v_cndmask_b32_e64 v9, 1.0, v9, s[0:1]
	v_cmp_class_f32_e64 s[0:1], v7, s6
	v_cndmask_b32_e64 v8, v8, v9, s[0:1]
	v_cmp_eq_f32_e64 s[0:1], 0, v4
	v_cmp_gt_f32_e64 s[4:5], 0, v7
	s_xor_b64 s[4:5], s[4:5], s[0:1]
	v_cmp_class_f32_e64 s[30:31], v4, s6
	v_cndmask_b32_e64 v7, v10, 0, s[4:5]
	v_cndmask_b32_e64 v9, 0, v4, s[2:3]
	v_bfi_b32 v7, s11, v7, v9
	s_or_b64 s[0:1], s[0:1], s[30:31]
	v_cndmask_b32_e64 v7, v8, v7, s[0:1]
	v_cmp_o_f32_e64 s[0:1], v4, v4
	v_cndmask_b32_e64 v4, v11, v7, s[0:1]
                                        ; implicit-def: $vgpr7
	s_and_saveexec_b64 s[0:1], vcc
	s_xor_b64 s[0:1], exec, s[0:1]
	s_cbranch_execz .LBB8_9
; %bb.8:
	v_mad_u64_u32 v[7:8], s[2:3], s10, 3, v[3:4]
	v_mov_b32_e32 v8, 0
	v_mov_b32_e32 v9, s25
	v_lshlrev_b64 v[7:8], 2, v[7:8]
	v_add_co_u32_e32 v7, vcc, s24, v7
	v_addc_co_u32_e32 v8, vcc, v9, v8, vcc
	global_load_dword v7, v[7:8], off
	s_waitcnt vmcnt(0)
	v_cvt_f32_i32_e32 v7, v7
	v_mul_f32_e32 v7, v4, v7
                                        ; implicit-def: $vgpr4
.LBB8_9:
	s_andn2_saveexec_b64 s[0:1], s[0:1]
	s_cbranch_execz .LBB8_11
; %bb.10:
	v_lshl_add_u32 v7, s10, 1, v3
	v_mov_b32_e32 v8, 0
	v_lshlrev_b64 v[7:8], 2, v[7:8]
	v_mov_b32_e32 v9, s25
	v_add_co_u32_e32 v7, vcc, s24, v7
	v_addc_co_u32_e32 v8, vcc, v9, v8, vcc
	global_load_dword v7, v[7:8], off
	s_waitcnt vmcnt(0)
	v_cvt_f32_i32_e32 v7, v7
	v_mul_f32_e32 v7, v4, v7
.LBB8_11:
	s_or_b64 exec, exec, s[0:1]
.LBB8_12:
	s_andn2_saveexec_b64 s[4:5], s[28:29]
	s_cbranch_execz .LBB8_14
; %bb.13:
	v_add_u32_e32 v7, s10, v3
	v_mov_b32_e32 v8, 0
	v_lshlrev_b64 v[7:8], 2, v[7:8]
	v_mov_b32_e32 v4, s25
	v_add_co_u32_e32 v7, vcc, s24, v7
	v_addc_co_u32_e32 v8, vcc, v4, v8, vcc
	v_cvt_f32_i32_e32 v4, v5
	v_cmp_neq_f32_e64 vcc, s9, 1.0
	global_load_dword v8, v[7:8], off
	v_mov_b32_e32 v9, s9
	v_mul_f32_e32 v4, 0.5, v4
	v_cndmask_b32_e32 v7, 1.0, v4, vcc
	v_cmp_neq_f32_e32 vcc, 0, v7
	v_cndmask_b32_e32 v4, 1.0, v9, vcc
	s_mov_b32 s0, 0x3f2aaaab
	v_frexp_mant_f32_e64 v13, |v4|
	v_cmp_gt_f32_e32 vcc, s0, v13
	v_cndmask_b32_e64 v14, 1.0, 2.0, vcc
	v_mul_f32_e32 v13, v13, v14
	v_add_f32_e32 v15, 1.0, v13
	v_cvt_f64_f32_e64 v[9:10], |v4|
	v_rcp_f32_e32 v16, v15
	v_add_f32_e32 v14, -1.0, v13
	v_add_f32_e32 v17, -1.0, v15
	v_frexp_exp_i32_f64_e32 v9, v[9:10]
	v_sub_f32_e32 v10, v13, v17
	v_mul_f32_e32 v13, v14, v16
	v_mul_f32_e32 v17, v15, v13
	v_fma_f32 v15, v13, v15, -v17
	v_fmac_f32_e32 v15, v13, v10
	v_add_f32_e32 v10, v17, v15
	v_sub_f32_e32 v18, v14, v10
	v_sub_f32_e32 v17, v10, v17
	;; [unrolled: 1-line block ×5, first 2 shown]
	v_add_f32_e32 v10, v15, v10
	v_add_f32_e32 v10, v18, v10
	v_mul_f32_e32 v10, v16, v10
	v_add_f32_e32 v14, v13, v10
	v_sub_f32_e32 v13, v14, v13
	v_mul_f32_e32 v15, v14, v14
	v_sub_f32_e32 v10, v10, v13
	v_fma_f32 v13, v14, v14, -v15
	v_add_f32_e32 v16, v10, v10
	v_fmac_f32_e32 v13, v14, v16
	v_mov_b32_e32 v11, 0x3e91f4c4
	v_add_f32_e32 v16, v15, v13
	v_mov_b32_e32 v12, 0x3ecccdef
	v_fmac_f32_e32 v11, 0x3e76c4e1, v16
	v_sub_f32_e32 v15, v16, v15
	v_mul_f32_e32 v17, v14, v16
	v_fmac_f32_e32 v12, v16, v11
	v_sub_f32_e32 v11, v13, v15
	v_fma_f32 v13, v16, v14, -v17
	v_fmac_f32_e32 v13, v16, v10
	v_mul_f32_e32 v15, v16, v12
	v_fmac_f32_e32 v13, v11, v14
	v_fma_f32 v16, v16, v12, -v15
	v_add_f32_e32 v18, v17, v13
	v_fmac_f32_e32 v16, v11, v12
	v_sub_f32_e32 v11, v18, v17
	v_add_f32_e32 v12, v15, v16
	v_sub_f32_e32 v11, v13, v11
	v_add_f32_e32 v13, 0x3f2aaaaa, v12
	v_sub_f32_e32 v15, v12, v15
	v_sub_f32_e32 v15, v16, v15
	v_add_f32_e32 v16, 0xbf2aaaaa, v13
	v_add_f32_e32 v15, 0x31739010, v15
	v_sub_f32_e32 v12, v12, v16
	v_subbrev_co_u32_e32 v9, vcc, 0, v9, vcc
	v_add_f32_e32 v12, v15, v12
	v_cvt_f32_i32_e32 v9, v9
	v_add_f32_e32 v15, v13, v12
	v_sub_f32_e32 v13, v13, v15
	v_mul_f32_e32 v16, v18, v15
	v_add_f32_e32 v12, v12, v13
	v_fma_f32 v13, v18, v15, -v16
	v_fmac_f32_e32 v13, v18, v12
	s_mov_b32 s1, 0x3f317218
	v_fmac_f32_e32 v13, v11, v15
	v_mul_f32_e32 v11, 0x3f317218, v9
	v_fma_f32 v12, v9, s1, -v11
	v_fmac_f32_e32 v12, 0xb102e308, v9
	v_ldexp_f32 v9, v10, 1
	v_ldexp_f32 v10, v14, 1
	v_add_f32_e32 v14, v11, v12
	v_sub_f32_e32 v11, v14, v11
	v_sub_f32_e32 v11, v12, v11
	v_add_f32_e32 v12, v16, v13
	v_sub_f32_e32 v15, v12, v16
	v_sub_f32_e32 v13, v13, v15
	;; [unrolled: 3-line block ×3, first 2 shown]
	v_add_f32_e32 v9, v9, v13
	v_add_f32_e32 v9, v9, v10
	;; [unrolled: 1-line block ×3, first 2 shown]
	v_sub_f32_e32 v12, v10, v15
	v_sub_f32_e32 v9, v9, v12
	v_add_f32_e32 v12, v14, v10
	v_sub_f32_e32 v13, v12, v14
	v_sub_f32_e32 v15, v12, v13
	;; [unrolled: 1-line block ×4, first 2 shown]
	v_add_f32_e32 v13, v11, v9
	v_add_f32_e32 v10, v10, v14
	v_sub_f32_e32 v14, v13, v11
	v_sub_f32_e32 v15, v13, v14
	;; [unrolled: 1-line block ×4, first 2 shown]
	v_add_f32_e32 v10, v13, v10
	v_add_f32_e32 v9, v9, v11
	;; [unrolled: 1-line block ×3, first 2 shown]
	v_sub_f32_e32 v12, v11, v12
	v_sub_f32_e32 v10, v10, v12
	v_add_f32_e32 v9, v9, v10
	v_add_f32_e32 v10, v11, v9
	v_sub_f32_e32 v11, v10, v11
	v_sub_f32_e32 v9, v9, v11
	v_mul_f32_e32 v11, v7, v10
	v_fma_f32 v10, v7, v10, -v11
	v_fmac_f32_e32 v10, v7, v9
	s_movk_i32 s6, 0x204
	v_add_f32_e32 v9, v11, v10
	v_cmp_class_f32_e64 vcc, v11, s6
	v_sub_f32_e32 v12, v9, v11
	v_cndmask_b32_e32 v9, v9, v11, vcc
	s_mov_b32 s1, 0x42b17218
	v_mov_b32_e32 v11, 0x37000000
	v_cmp_eq_f32_e32 vcc, s1, v9
	v_cndmask_b32_e32 v11, 0, v11, vcc
	v_sub_f32_e32 v10, v10, v12
	v_sub_f32_e32 v12, v9, v11
	s_mov_b32 s2, 0x3fb8aa3b
	v_mul_f32_e32 v13, 0x3fb8aa3b, v12
	v_fma_f32 v14, v12, s2, -v13
	v_rndne_f32_e32 v15, v13
	v_fmac_f32_e32 v14, 0x32a5705f, v12
	v_sub_f32_e32 v13, v13, v15
	v_add_f32_e32 v13, v13, v14
	v_exp_f32_e32 v13, v13
	v_cvt_i32_f32_e32 v14, v15
	s_mov_b32 s0, 0x7f800000
	v_cmp_neq_f32_e64 vcc, |v9|, s0
	s_mov_b32 s0, 0xc2ce8ed0
	v_cndmask_b32_e32 v9, 0, v10, vcc
	v_ldexp_f32 v10, v13, v14
	v_cmp_ngt_f32_e32 vcc, s0, v12
	v_add_f32_e32 v9, v11, v9
	v_cndmask_b32_e32 v10, 0, v10, vcc
	v_mov_b32_e32 v11, 0x7f800000
	v_cmp_nlt_f32_e32 vcc, s1, v12
	v_cndmask_b32_e32 v10, v11, v10, vcc
	v_fma_f32 v9, v10, v9, v10
	v_cmp_class_f32_e64 vcc, v10, s6
	v_cndmask_b32_e32 v9, v9, v10, vcc
	v_trunc_f32_e32 v10, v7
	v_cmp_eq_f32_e32 vcc, v10, v7
	v_mul_f32_e32 v10, 0.5, v7
	v_trunc_f32_e32 v13, v10
	v_cmp_neq_f32_e64 s[0:1], v13, v10
	s_and_b64 s[0:1], vcc, s[0:1]
	v_cndmask_b32_e64 v10, 1.0, v4, s[0:1]
	s_brev_b32 s11, -2
	v_mov_b32_e32 v12, 0x7fc00000
	v_bfi_b32 v9, s11, v9, v10
	v_cmp_neq_f32_e64 s[2:3], v7, |v7|
	v_cmp_lt_f32_e64 s[28:29], |v4|, 1.0
	v_cndmask_b32_e32 v10, v12, v9, vcc
	v_cmp_gt_f32_e32 vcc, 0, v4
	s_xor_b64 s[2:3], s[2:3], s[28:29]
	v_cndmask_b32_e32 v9, v9, v10, vcc
	v_cndmask_b32_e64 v10, v11, 0, s[2:3]
	v_cmp_neq_f32_e64 vcc, |v4|, 1.0
	v_cndmask_b32_e32 v10, 1.0, v10, vcc
	v_cmp_class_f32_e64 vcc, v7, s6
	v_cndmask_b32_e32 v9, v9, v10, vcc
	v_cmp_eq_f32_e32 vcc, 0, v4
	v_cmp_gt_f32_e64 s[2:3], 0, v7
	s_xor_b64 s[2:3], s[2:3], vcc
	s_waitcnt vmcnt(0)
	v_cvt_f32_i32_e32 v8, v8
	v_cmp_class_f32_e64 s[28:29], v4, s6
	v_cndmask_b32_e64 v7, v11, 0, s[2:3]
	v_cndmask_b32_e64 v10, 0, v4, s[0:1]
	v_bfi_b32 v7, s11, v7, v10
	s_or_b64 vcc, vcc, s[28:29]
	v_cndmask_b32_e32 v7, v9, v7, vcc
	v_cmp_o_f32_e32 vcc, v4, v4
	v_cndmask_b32_e32 v4, v12, v7, vcc
	v_mul_f32_e32 v7, v4, v8
.LBB8_14:
	s_or_b64 exec, exec, s[4:5]
.LBB8_15:
	s_andn2_saveexec_b64 s[4:5], s[26:27]
	s_cbranch_execz .LBB8_17
; %bb.16:
	v_mov_b32_e32 v4, 0
	v_lshlrev_b64 v[7:8], 2, v[3:4]
	v_mov_b32_e32 v4, s25
	v_add_co_u32_e32 v7, vcc, s24, v7
	v_addc_co_u32_e32 v8, vcc, v4, v8, vcc
	v_cvt_f32_i32_e32 v4, v5
	v_cmp_neq_f32_e64 vcc, s9, 1.0
	global_load_dword v8, v[7:8], off
	v_mov_b32_e32 v9, s9
	v_mul_f32_e32 v4, 0.5, v4
	v_cndmask_b32_e32 v7, 1.0, v4, vcc
	v_cmp_neq_f32_e32 vcc, 0, v7
	v_cndmask_b32_e32 v4, 1.0, v9, vcc
	s_mov_b32 s0, 0x3f2aaaab
	v_frexp_mant_f32_e64 v13, |v4|
	v_cmp_gt_f32_e32 vcc, s0, v13
	v_cndmask_b32_e64 v14, 1.0, 2.0, vcc
	v_mul_f32_e32 v13, v13, v14
	v_add_f32_e32 v15, 1.0, v13
	v_cvt_f64_f32_e64 v[9:10], |v4|
	v_rcp_f32_e32 v16, v15
	v_add_f32_e32 v14, -1.0, v13
	v_add_f32_e32 v17, -1.0, v15
	v_frexp_exp_i32_f64_e32 v9, v[9:10]
	v_sub_f32_e32 v10, v13, v17
	v_mul_f32_e32 v13, v14, v16
	v_mul_f32_e32 v17, v15, v13
	v_fma_f32 v15, v13, v15, -v17
	v_fmac_f32_e32 v15, v13, v10
	v_add_f32_e32 v10, v17, v15
	v_sub_f32_e32 v18, v14, v10
	v_sub_f32_e32 v17, v10, v17
	;; [unrolled: 1-line block ×5, first 2 shown]
	v_add_f32_e32 v10, v15, v10
	v_add_f32_e32 v10, v18, v10
	v_mul_f32_e32 v10, v16, v10
	v_add_f32_e32 v15, v13, v10
	v_sub_f32_e32 v13, v15, v13
	v_mul_f32_e32 v16, v15, v15
	v_sub_f32_e32 v10, v10, v13
	v_fma_f32 v13, v15, v15, -v16
	v_add_f32_e32 v17, v10, v10
	v_fmac_f32_e32 v13, v15, v17
	v_mov_b32_e32 v11, 0x3e91f4c4
	v_add_f32_e32 v17, v16, v13
	v_mov_b32_e32 v12, 0x3ecccdef
	v_fmac_f32_e32 v11, 0x3e76c4e1, v17
	v_sub_f32_e32 v16, v17, v16
	v_mul_f32_e32 v18, v15, v17
	v_fmac_f32_e32 v12, v17, v11
	v_sub_f32_e32 v11, v13, v16
	v_fma_f32 v13, v17, v15, -v18
	v_fmac_f32_e32 v13, v17, v10
	v_mul_f32_e32 v16, v17, v12
	v_fmac_f32_e32 v13, v11, v15
	v_fma_f32 v17, v17, v12, -v16
	v_add_f32_e32 v19, v18, v13
	v_fmac_f32_e32 v17, v11, v12
	v_sub_f32_e32 v11, v19, v18
	v_add_f32_e32 v12, v16, v17
	v_sub_f32_e32 v11, v13, v11
	v_add_f32_e32 v13, 0x3f2aaaaa, v12
	v_sub_f32_e32 v16, v12, v16
	v_sub_f32_e32 v16, v17, v16
	v_add_f32_e32 v17, 0xbf2aaaaa, v13
	v_subbrev_co_u32_e32 v9, vcc, 0, v9, vcc
	v_add_f32_e32 v16, 0x31739010, v16
	v_sub_f32_e32 v12, v12, v17
	v_cvt_f32_i32_e32 v9, v9
	v_add_f32_e32 v12, v16, v12
	v_add_f32_e32 v16, v13, v12
	v_sub_f32_e32 v13, v13, v16
	v_mul_f32_e32 v17, v19, v16
	v_add_f32_e32 v12, v12, v13
	v_fma_f32 v13, v19, v16, -v17
	s_mov_b32 s1, 0x3f317218
	v_mul_f32_e32 v14, 0x3f317218, v9
	v_fmac_f32_e32 v13, v19, v12
	v_fmac_f32_e32 v13, v11, v16
	v_fma_f32 v11, v9, s1, -v14
	v_fmac_f32_e32 v11, 0xb102e308, v9
	v_add_f32_e32 v12, v14, v11
	v_sub_f32_e32 v14, v12, v14
	v_sub_f32_e32 v11, v11, v14
	v_add_f32_e32 v14, v17, v13
	v_ldexp_f32 v9, v10, 1
	v_ldexp_f32 v10, v15, 1
	v_sub_f32_e32 v15, v14, v17
	v_sub_f32_e32 v13, v13, v15
	v_add_f32_e32 v15, v10, v14
	v_sub_f32_e32 v10, v15, v10
	v_sub_f32_e32 v10, v14, v10
	v_add_f32_e32 v9, v9, v13
	v_add_f32_e32 v9, v9, v10
	;; [unrolled: 1-line block ×3, first 2 shown]
	v_sub_f32_e32 v13, v10, v15
	v_sub_f32_e32 v9, v9, v13
	v_add_f32_e32 v13, v12, v10
	v_sub_f32_e32 v14, v13, v12
	v_sub_f32_e32 v15, v13, v14
	;; [unrolled: 1-line block ×4, first 2 shown]
	v_add_f32_e32 v10, v10, v12
	v_add_f32_e32 v12, v11, v9
	v_sub_f32_e32 v14, v12, v11
	v_sub_f32_e32 v15, v12, v14
	;; [unrolled: 1-line block ×4, first 2 shown]
	v_add_f32_e32 v10, v12, v10
	v_add_f32_e32 v9, v9, v11
	;; [unrolled: 1-line block ×3, first 2 shown]
	v_sub_f32_e32 v12, v11, v13
	v_sub_f32_e32 v10, v10, v12
	v_add_f32_e32 v9, v9, v10
	v_add_f32_e32 v10, v11, v9
	v_sub_f32_e32 v11, v10, v11
	v_sub_f32_e32 v9, v9, v11
	v_mul_f32_e32 v11, v7, v10
	v_fma_f32 v10, v7, v10, -v11
	v_fmac_f32_e32 v10, v7, v9
	s_movk_i32 s6, 0x204
	v_add_f32_e32 v9, v11, v10
	v_cmp_class_f32_e64 vcc, v11, s6
	v_sub_f32_e32 v12, v9, v11
	v_cndmask_b32_e32 v9, v9, v11, vcc
	s_mov_b32 s1, 0x42b17218
	v_mov_b32_e32 v11, 0x37000000
	v_cmp_eq_f32_e32 vcc, s1, v9
	v_cndmask_b32_e32 v11, 0, v11, vcc
	v_sub_f32_e32 v10, v10, v12
	v_sub_f32_e32 v12, v9, v11
	s_mov_b32 s2, 0x3fb8aa3b
	v_mul_f32_e32 v13, 0x3fb8aa3b, v12
	v_fma_f32 v14, v12, s2, -v13
	v_rndne_f32_e32 v15, v13
	v_fmac_f32_e32 v14, 0x32a5705f, v12
	v_sub_f32_e32 v13, v13, v15
	v_add_f32_e32 v13, v13, v14
	v_exp_f32_e32 v13, v13
	v_cvt_i32_f32_e32 v14, v15
	s_mov_b32 s0, 0x7f800000
	v_cmp_neq_f32_e64 vcc, |v9|, s0
	s_mov_b32 s0, 0xc2ce8ed0
	v_cndmask_b32_e32 v9, 0, v10, vcc
	v_ldexp_f32 v10, v13, v14
	v_cmp_ngt_f32_e32 vcc, s0, v12
	v_add_f32_e32 v9, v11, v9
	v_cndmask_b32_e32 v10, 0, v10, vcc
	v_mov_b32_e32 v11, 0x7f800000
	v_cmp_nlt_f32_e32 vcc, s1, v12
	v_cndmask_b32_e32 v10, v11, v10, vcc
	v_fma_f32 v9, v10, v9, v10
	v_cmp_class_f32_e64 vcc, v10, s6
	v_cndmask_b32_e32 v9, v9, v10, vcc
	v_trunc_f32_e32 v10, v7
	v_cmp_eq_f32_e32 vcc, v10, v7
	v_mul_f32_e32 v10, 0.5, v7
	v_trunc_f32_e32 v13, v10
	v_cmp_neq_f32_e64 s[0:1], v13, v10
	s_and_b64 s[0:1], vcc, s[0:1]
	v_cndmask_b32_e64 v10, 1.0, v4, s[0:1]
	s_brev_b32 s11, -2
	v_mov_b32_e32 v12, 0x7fc00000
	v_bfi_b32 v9, s11, v9, v10
	v_cmp_neq_f32_e64 s[2:3], v7, |v7|
	v_cmp_lt_f32_e64 s[26:27], |v4|, 1.0
	v_cndmask_b32_e32 v10, v12, v9, vcc
	v_cmp_gt_f32_e32 vcc, 0, v4
	s_xor_b64 s[2:3], s[2:3], s[26:27]
	v_cndmask_b32_e32 v9, v9, v10, vcc
	v_cndmask_b32_e64 v10, v11, 0, s[2:3]
	v_cmp_neq_f32_e64 vcc, |v4|, 1.0
	v_cndmask_b32_e32 v10, 1.0, v10, vcc
	v_cmp_class_f32_e64 vcc, v7, s6
	v_cndmask_b32_e32 v9, v9, v10, vcc
	v_cmp_eq_f32_e32 vcc, 0, v4
	v_cmp_gt_f32_e64 s[2:3], 0, v7
	s_xor_b64 s[2:3], s[2:3], vcc
	s_waitcnt vmcnt(0)
	v_cvt_f32_i32_e32 v8, v8
	v_cmp_class_f32_e64 s[26:27], v4, s6
	v_cndmask_b32_e64 v7, v11, 0, s[2:3]
	v_cndmask_b32_e64 v10, 0, v4, s[0:1]
	v_bfi_b32 v7, s11, v7, v10
	s_or_b64 vcc, vcc, s[26:27]
	v_cndmask_b32_e32 v7, v9, v7, vcc
	v_cmp_o_f32_e32 vcc, v4, v4
	v_cndmask_b32_e32 v4, v12, v7, vcc
	v_mul_f32_e32 v7, v4, v8
.LBB8_17:
	s_or_b64 exec, exec, s[4:5]
	s_cbranch_execz .LBB8_21
; %bb.18:
	v_cmp_eq_f32_e64 s[0:1], s13, 0
	v_mul_f32_e32 v3, s12, v7
	s_and_b64 vcc, exec, s[0:1]
	s_cbranch_vccnz .LBB8_34
.LBB8_19:
	v_cvt_f32_i32_e32 v2, v2
	v_div_scale_f32 v5, s[0:1], s12, s12, 1.0
	v_mov_b32_e32 v4, s15
	v_sub_f32_e32 v4, s8, v4
	v_subrev_f32_e32 v2, s15, v2
	v_max_f32_e32 v4, 0x3a83126f, v4
	v_div_scale_f32 v6, s[0:1], v4, v4, v2
	v_div_scale_f32 v8, s[0:1], 1.0, s12, 1.0
	v_div_scale_f32 v9, vcc, v2, v4, v2
	s_mov_b32 s2, 0x3f317217
	s_mov_b32 s3, 0x7f800000
	v_rcp_f32_e32 v10, v5
	v_fma_f32 v11, -v5, v10, 1.0
	v_fmac_f32_e32 v10, v11, v10
	v_rcp_f32_e32 v12, v6
	v_mul_f32_e32 v11, v8, v10
	v_fma_f32 v13, -v5, v11, v8
	v_fmac_f32_e32 v11, v13, v10
	v_fma_f32 v13, -v6, v12, 1.0
	v_fmac_f32_e32 v12, v13, v12
	v_fma_f32 v5, -v5, v11, v8
	v_mul_f32_e32 v8, v9, v12
	v_fma_f32 v13, -v6, v8, v9
	v_fmac_f32_e32 v8, v13, v12
	v_fma_f32 v6, -v6, v8, v9
	v_div_fmas_f32 v6, v6, v12, v8
	s_mov_b64 vcc, s[0:1]
	v_div_fmas_f32 v5, v5, v10, v11
	s_mov_b32 s0, 0x800000
	v_mov_b32_e32 v8, 0x41b17218
	v_div_fixup_f32 v2, v6, v4, v2 clamp
	v_sub_f32_e32 v2, 1.0, v2
	v_div_fixup_f32 v4, v5, s12, 1.0
	v_cmp_gt_f32_e32 vcc, s0, v4
	s_and_b64 s[0:1], vcc, exec
	s_cselect_b32 s0, 32, 0
	v_ldexp_f32 v4, v4, s0
	v_log_f32_e32 v4, v4
	v_mul_f32_e32 v5, s13, v2
	v_fma_f32 v2, -s13, v2, 1.0
	v_mul_f32_e32 v3, v2, v3
	v_mul_f32_e32 v2, 0x3f317217, v4
	v_fma_f32 v2, v4, s2, -v2
	v_fmac_f32_e32 v2, 0x3377d1cf, v4
	v_cndmask_b32_e32 v6, 0, v8, vcc
	v_fmac_f32_e32 v2, 0x3f317217, v4
	v_cmp_lt_f32_e64 vcc, |v4|, s3
	v_cndmask_b32_e32 v2, v4, v2, vcc
	v_sub_f32_e32 v2, v2, v6
	s_mov_b32 s0, 0x3dcccccd
	v_fma_f32 v2, v2, s0, 1.0
	v_fmac_f32_e32 v3, v5, v7
	v_mul_f32_e32 v4, s14, v2
	s_branch .LBB8_35
.LBB8_20:
                                        ; implicit-def: $vgpr7
.LBB8_21:
	s_mov_b32 s0, 0x55555556
	v_mul_hi_i32 v4, v6, s0
	s_mul_i32 s0, s21, 3
	v_cmp_le_i32_e64 s[0:1], s0, v6
	v_lshrrev_b32_e32 v7, 31, v4
	v_add_u32_e32 v4, v4, v7
	v_lshl_add_u32 v4, v4, 1, v4
	v_sub_u32_e32 v4, v6, v4
	v_cmp_ne_u32_e32 vcc, 1, v4
	s_or_b64 s[0:1], vcc, s[0:1]
                                        ; implicit-def: $vgpr7
	s_and_saveexec_b64 s[2:3], s[0:1]
	s_xor_b64 s[4:5], exec, s[2:3]
	s_cbranch_execz .LBB8_31
; %bb.22:
	s_mul_i32 s0, s22, 3
	v_cmp_ne_u32_e32 vcc, 2, v4
	v_cmp_le_i32_e64 s[0:1], s0, v6
	s_or_b64 s[0:1], vcc, s[0:1]
                                        ; implicit-def: $vgpr7
	s_and_saveexec_b64 s[2:3], s[0:1]
	s_xor_b64 s[22:23], exec, s[2:3]
	s_cbranch_execz .LBB8_28
; %bb.23:
	s_mul_i32 s0, s20, 3
	v_cmp_ne_u32_e32 vcc, 0, v4
	v_cmp_le_i32_e64 s[0:1], s0, v6
	s_or_b64 s[0:1], vcc, s[0:1]
                                        ; implicit-def: $vgpr7
	s_and_saveexec_b64 s[2:3], s[0:1]
	s_xor_b64 s[20:21], exec, s[2:3]
	s_cbranch_execz .LBB8_25
; %bb.24:
	v_mad_u64_u32 v[3:4], s[0:1], s10, 3, v[3:4]
	v_mov_b32_e32 v4, 0
	v_mov_b32_e32 v6, s25
	v_lshlrev_b64 v[3:4], 2, v[3:4]
	s_mov_b32 s0, 0x3f2aaaab
	v_add_co_u32_e32 v3, vcc, s24, v3
	v_addc_co_u32_e32 v4, vcc, v6, v4, vcc
	global_load_dword v6, v[3:4], off
	v_cvt_f32_i32_e32 v3, v5
	v_cmp_neq_f32_e64 vcc, s9, 1.0
	v_mov_b32_e32 v5, s9
	v_mov_b32_e32 v9, 0x3e91f4c4
	v_mul_f32_e32 v3, 0.5, v3
	v_cndmask_b32_e32 v4, 1.0, v3, vcc
	v_cmp_neq_f32_e32 vcc, 0, v4
	v_cndmask_b32_e32 v3, 1.0, v5, vcc
	v_frexp_mant_f32_e64 v5, |v3|
	v_cmp_gt_f32_e32 vcc, s0, v5
	v_cndmask_b32_e64 v11, 1.0, 2.0, vcc
	v_mul_f32_e32 v5, v5, v11
	v_add_f32_e32 v12, 1.0, v5
	v_cvt_f64_f32_e64 v[7:8], |v3|
	v_rcp_f32_e32 v13, v12
	v_add_f32_e32 v11, -1.0, v5
	v_add_f32_e32 v14, -1.0, v12
	v_frexp_exp_i32_f64_e32 v7, v[7:8]
	v_mul_f32_e32 v8, v11, v13
	v_sub_f32_e32 v5, v5, v14
	v_mul_f32_e32 v14, v12, v8
	v_fma_f32 v12, v8, v12, -v14
	v_fmac_f32_e32 v12, v8, v5
	v_add_f32_e32 v5, v14, v12
	v_sub_f32_e32 v15, v11, v5
	v_sub_f32_e32 v14, v5, v14
	;; [unrolled: 1-line block ×5, first 2 shown]
	v_add_f32_e32 v5, v12, v5
	v_add_f32_e32 v5, v15, v5
	v_mul_f32_e32 v5, v13, v5
	v_add_f32_e32 v13, v8, v5
	v_sub_f32_e32 v8, v13, v8
	v_mul_f32_e32 v14, v13, v13
	v_sub_f32_e32 v5, v5, v8
	v_fma_f32 v8, v13, v13, -v14
	v_add_f32_e32 v15, v5, v5
	v_fmac_f32_e32 v8, v13, v15
	v_add_f32_e32 v15, v14, v8
	v_mov_b32_e32 v10, 0x3ecccdef
	v_fmac_f32_e32 v9, 0x3e76c4e1, v15
	v_mul_f32_e32 v16, v13, v15
	v_sub_f32_e32 v14, v15, v14
	v_fmac_f32_e32 v10, v15, v9
	v_fma_f32 v9, v15, v13, -v16
	v_sub_f32_e32 v8, v8, v14
	v_fmac_f32_e32 v9, v15, v5
	v_mul_f32_e32 v14, v15, v10
	v_fmac_f32_e32 v9, v8, v13
	v_fma_f32 v15, v15, v10, -v14
	v_add_f32_e32 v17, v16, v9
	v_fmac_f32_e32 v15, v8, v10
	v_sub_f32_e32 v8, v17, v16
	v_add_f32_e32 v10, v14, v15
	v_subbrev_co_u32_e32 v7, vcc, 0, v7, vcc
	v_sub_f32_e32 v8, v9, v8
	v_add_f32_e32 v9, 0x3f2aaaaa, v10
	v_sub_f32_e32 v14, v10, v14
	v_cvt_f32_i32_e32 v7, v7
	v_sub_f32_e32 v14, v15, v14
	v_add_f32_e32 v15, 0xbf2aaaaa, v9
	v_add_f32_e32 v14, 0x31739010, v14
	v_sub_f32_e32 v10, v10, v15
	v_add_f32_e32 v10, v14, v10
	v_add_f32_e32 v14, v9, v10
	s_mov_b32 s1, 0x3f317218
	v_mul_f32_e32 v11, 0x3f317218, v7
	v_sub_f32_e32 v9, v9, v14
	v_mul_f32_e32 v15, v17, v14
	v_fma_f32 v12, v7, s1, -v11
	v_add_f32_e32 v9, v10, v9
	v_fma_f32 v10, v17, v14, -v15
	v_fmac_f32_e32 v10, v17, v9
	v_fmac_f32_e32 v12, 0xb102e308, v7
	;; [unrolled: 1-line block ×3, first 2 shown]
	v_add_f32_e32 v8, v11, v12
	v_sub_f32_e32 v9, v8, v11
	v_add_f32_e32 v11, v15, v10
	v_ldexp_f32 v7, v13, 1
	v_sub_f32_e32 v9, v12, v9
	v_sub_f32_e32 v12, v11, v15
	;; [unrolled: 1-line block ×3, first 2 shown]
	v_add_f32_e32 v12, v7, v11
	v_ldexp_f32 v5, v5, 1
	v_sub_f32_e32 v7, v12, v7
	v_sub_f32_e32 v7, v11, v7
	v_add_f32_e32 v5, v5, v10
	v_add_f32_e32 v5, v5, v7
	;; [unrolled: 1-line block ×3, first 2 shown]
	v_sub_f32_e32 v10, v7, v12
	v_sub_f32_e32 v5, v5, v10
	v_add_f32_e32 v10, v8, v7
	v_sub_f32_e32 v11, v10, v8
	v_sub_f32_e32 v12, v10, v11
	v_sub_f32_e32 v8, v8, v12
	v_sub_f32_e32 v7, v7, v11
	v_add_f32_e32 v7, v7, v8
	v_add_f32_e32 v8, v9, v5
	v_sub_f32_e32 v11, v8, v9
	v_sub_f32_e32 v12, v8, v11
	v_add_f32_e32 v7, v8, v7
	v_sub_f32_e32 v9, v9, v12
	v_sub_f32_e32 v5, v5, v11
	v_add_f32_e32 v8, v10, v7
	v_add_f32_e32 v5, v5, v9
	v_sub_f32_e32 v9, v8, v10
	v_sub_f32_e32 v7, v7, v9
	v_add_f32_e32 v5, v5, v7
	v_add_f32_e32 v7, v8, v5
	v_sub_f32_e32 v8, v7, v8
	v_sub_f32_e32 v5, v5, v8
	v_mul_f32_e32 v8, v4, v7
	v_fma_f32 v7, v4, v7, -v8
	v_fmac_f32_e32 v7, v4, v5
	s_movk_i32 s6, 0x204
	v_add_f32_e32 v5, v8, v7
	v_cmp_class_f32_e64 vcc, v8, s6
	v_sub_f32_e32 v9, v5, v8
	v_cndmask_b32_e32 v5, v5, v8, vcc
	s_mov_b32 s1, 0x42b17218
	v_mov_b32_e32 v8, 0x37000000
	v_cmp_eq_f32_e32 vcc, s1, v5
	v_cndmask_b32_e32 v8, 0, v8, vcc
	v_sub_f32_e32 v7, v7, v9
	v_sub_f32_e32 v9, v5, v8
	s_mov_b32 s2, 0x3fb8aa3b
	v_mul_f32_e32 v10, 0x3fb8aa3b, v9
	v_fma_f32 v11, v9, s2, -v10
	v_rndne_f32_e32 v12, v10
	v_fmac_f32_e32 v11, 0x32a5705f, v9
	v_sub_f32_e32 v10, v10, v12
	v_add_f32_e32 v10, v10, v11
	v_exp_f32_e32 v10, v10
	v_cvt_i32_f32_e32 v11, v12
	s_mov_b32 s0, 0x7f800000
	v_cmp_neq_f32_e64 vcc, |v5|, s0
	s_mov_b32 s0, 0xc2ce8ed0
	v_cndmask_b32_e32 v5, 0, v7, vcc
	v_ldexp_f32 v7, v10, v11
	v_cmp_ngt_f32_e32 vcc, s0, v9
	v_add_f32_e32 v5, v8, v5
	v_cndmask_b32_e32 v7, 0, v7, vcc
	v_mov_b32_e32 v8, 0x7f800000
	v_cmp_nlt_f32_e32 vcc, s1, v9
	v_cndmask_b32_e32 v7, v8, v7, vcc
	v_fma_f32 v5, v7, v5, v7
	v_cmp_class_f32_e64 vcc, v7, s6
	v_cndmask_b32_e32 v5, v5, v7, vcc
	v_trunc_f32_e32 v7, v4
	v_cmp_eq_f32_e32 vcc, v7, v4
	v_mul_f32_e32 v7, 0.5, v4
	v_trunc_f32_e32 v10, v7
	v_cmp_neq_f32_e64 s[0:1], v10, v7
	s_and_b64 s[0:1], vcc, s[0:1]
	v_cndmask_b32_e64 v7, 1.0, v3, s[0:1]
	s_brev_b32 s11, -2
	v_mov_b32_e32 v9, 0x7fc00000
	v_bfi_b32 v5, s11, v5, v7
	v_cmp_neq_f32_e64 s[2:3], v4, |v4|
	v_cmp_lt_f32_e64 s[26:27], |v3|, 1.0
	v_cndmask_b32_e32 v7, v9, v5, vcc
	v_cmp_gt_f32_e32 vcc, 0, v3
	s_xor_b64 s[2:3], s[2:3], s[26:27]
	v_cndmask_b32_e32 v5, v5, v7, vcc
	v_cndmask_b32_e64 v7, v8, 0, s[2:3]
	v_cmp_neq_f32_e64 vcc, |v3|, 1.0
	v_cndmask_b32_e32 v7, 1.0, v7, vcc
	v_cmp_class_f32_e64 vcc, v4, s6
	v_cndmask_b32_e32 v5, v5, v7, vcc
	v_cmp_eq_f32_e32 vcc, 0, v3
	v_cmp_gt_f32_e64 s[2:3], 0, v4
	s_xor_b64 s[2:3], s[2:3], vcc
	s_waitcnt vmcnt(0)
	v_cvt_f32_i32_e32 v6, v6
	v_cmp_class_f32_e64 s[26:27], v3, s6
	v_cndmask_b32_e64 v4, v8, 0, s[2:3]
	v_cndmask_b32_e64 v7, 0, v3, s[0:1]
	v_bfi_b32 v4, s11, v4, v7
	s_or_b64 vcc, vcc, s[26:27]
	v_cndmask_b32_e32 v4, v5, v4, vcc
	v_cmp_o_f32_e32 vcc, v3, v3
	v_cndmask_b32_e32 v3, v9, v4, vcc
	v_mul_f32_e32 v7, v3, v6
                                        ; implicit-def: $vgpr3
                                        ; implicit-def: $vgpr5
.LBB8_25:
	s_andn2_saveexec_b64 s[20:21], s[20:21]
	s_cbranch_execz .LBB8_27
; %bb.26:
	v_mov_b32_e32 v4, 0
	v_lshlrev_b64 v[3:4], 2, v[3:4]
	v_mov_b32_e32 v6, s25
	v_add_co_u32_e32 v3, vcc, s24, v3
	v_addc_co_u32_e32 v4, vcc, v6, v4, vcc
	global_load_dword v6, v[3:4], off
	v_cvt_f32_i32_e32 v3, v5
	v_cmp_neq_f32_e64 vcc, s9, 1.0
	v_mov_b32_e32 v5, s9
	s_mov_b32 s0, 0x3f2aaaab
	v_mul_f32_e32 v3, 0.5, v3
	v_cndmask_b32_e32 v4, 1.0, v3, vcc
	v_cmp_neq_f32_e32 vcc, 0, v4
	v_cndmask_b32_e32 v3, 1.0, v5, vcc
	v_frexp_mant_f32_e64 v5, |v3|
	v_cmp_gt_f32_e32 vcc, s0, v5
	v_cndmask_b32_e64 v11, 1.0, 2.0, vcc
	v_mul_f32_e32 v5, v5, v11
	v_add_f32_e32 v12, 1.0, v5
	v_cvt_f64_f32_e64 v[7:8], |v3|
	v_rcp_f32_e32 v13, v12
	v_add_f32_e32 v11, -1.0, v5
	v_add_f32_e32 v14, -1.0, v12
	v_frexp_exp_i32_f64_e32 v7, v[7:8]
	v_mul_f32_e32 v8, v11, v13
	v_sub_f32_e32 v5, v5, v14
	v_mul_f32_e32 v14, v12, v8
	v_fma_f32 v12, v8, v12, -v14
	v_fmac_f32_e32 v12, v8, v5
	v_add_f32_e32 v5, v14, v12
	v_sub_f32_e32 v15, v11, v5
	v_sub_f32_e32 v14, v5, v14
	;; [unrolled: 1-line block ×5, first 2 shown]
	v_add_f32_e32 v5, v12, v5
	v_add_f32_e32 v5, v15, v5
	v_mul_f32_e32 v5, v13, v5
	v_add_f32_e32 v12, v8, v5
	v_sub_f32_e32 v8, v12, v8
	v_mul_f32_e32 v13, v12, v12
	v_sub_f32_e32 v5, v5, v8
	v_fma_f32 v8, v12, v12, -v13
	v_add_f32_e32 v14, v5, v5
	v_fmac_f32_e32 v8, v12, v14
	v_mov_b32_e32 v9, 0x3e91f4c4
	v_add_f32_e32 v14, v13, v8
	v_mov_b32_e32 v10, 0x3ecccdef
	v_fmac_f32_e32 v9, 0x3e76c4e1, v14
	v_mul_f32_e32 v15, v12, v14
	v_sub_f32_e32 v13, v14, v13
	v_fmac_f32_e32 v10, v14, v9
	v_fma_f32 v9, v14, v12, -v15
	v_sub_f32_e32 v8, v8, v13
	v_fmac_f32_e32 v9, v14, v5
	v_mul_f32_e32 v13, v14, v10
	v_fmac_f32_e32 v9, v8, v12
	v_fma_f32 v14, v14, v10, -v13
	v_add_f32_e32 v16, v15, v9
	v_fmac_f32_e32 v14, v8, v10
	v_sub_f32_e32 v8, v16, v15
	v_add_f32_e32 v10, v13, v14
	v_sub_f32_e32 v8, v9, v8
	v_add_f32_e32 v9, 0x3f2aaaaa, v10
	v_sub_f32_e32 v13, v10, v13
	v_sub_f32_e32 v13, v14, v13
	v_add_f32_e32 v14, 0xbf2aaaaa, v9
	v_subbrev_co_u32_e32 v7, vcc, 0, v7, vcc
	v_add_f32_e32 v13, 0x31739010, v13
	v_sub_f32_e32 v10, v10, v14
	v_cvt_f32_i32_e32 v7, v7
	v_add_f32_e32 v10, v13, v10
	v_add_f32_e32 v13, v9, v10
	v_sub_f32_e32 v9, v9, v13
	v_mul_f32_e32 v14, v16, v13
	v_add_f32_e32 v9, v10, v9
	v_fma_f32 v10, v16, v13, -v14
	s_mov_b32 s1, 0x3f317218
	v_mul_f32_e32 v11, 0x3f317218, v7
	v_fmac_f32_e32 v10, v16, v9
	v_fmac_f32_e32 v10, v8, v13
	v_fma_f32 v8, v7, s1, -v11
	v_fmac_f32_e32 v8, 0xb102e308, v7
	v_add_f32_e32 v9, v11, v8
	v_sub_f32_e32 v11, v9, v11
	v_sub_f32_e32 v8, v8, v11
	v_add_f32_e32 v11, v14, v10
	v_ldexp_f32 v7, v12, 1
	v_sub_f32_e32 v12, v11, v14
	v_sub_f32_e32 v10, v10, v12
	v_add_f32_e32 v12, v7, v11
	v_ldexp_f32 v5, v5, 1
	v_sub_f32_e32 v7, v12, v7
	v_sub_f32_e32 v7, v11, v7
	v_add_f32_e32 v5, v5, v10
	v_add_f32_e32 v5, v5, v7
	;; [unrolled: 1-line block ×3, first 2 shown]
	v_sub_f32_e32 v10, v7, v12
	v_sub_f32_e32 v5, v5, v10
	v_add_f32_e32 v10, v9, v7
	v_sub_f32_e32 v11, v10, v9
	v_sub_f32_e32 v12, v10, v11
	v_sub_f32_e32 v9, v9, v12
	v_sub_f32_e32 v7, v7, v11
	v_add_f32_e32 v7, v7, v9
	v_add_f32_e32 v9, v8, v5
	v_sub_f32_e32 v11, v9, v8
	v_sub_f32_e32 v12, v9, v11
	;; [unrolled: 1-line block ×4, first 2 shown]
	v_add_f32_e32 v7, v9, v7
	v_add_f32_e32 v5, v5, v8
	;; [unrolled: 1-line block ×3, first 2 shown]
	v_sub_f32_e32 v9, v8, v10
	v_sub_f32_e32 v7, v7, v9
	v_add_f32_e32 v5, v5, v7
	v_add_f32_e32 v7, v8, v5
	v_sub_f32_e32 v8, v7, v8
	v_sub_f32_e32 v5, v5, v8
	v_mul_f32_e32 v8, v4, v7
	v_fma_f32 v7, v4, v7, -v8
	v_fmac_f32_e32 v7, v4, v5
	s_movk_i32 s6, 0x204
	v_add_f32_e32 v5, v8, v7
	v_cmp_class_f32_e64 vcc, v8, s6
	v_sub_f32_e32 v9, v5, v8
	v_cndmask_b32_e32 v5, v5, v8, vcc
	s_mov_b32 s1, 0x42b17218
	v_mov_b32_e32 v8, 0x37000000
	v_cmp_eq_f32_e32 vcc, s1, v5
	v_cndmask_b32_e32 v8, 0, v8, vcc
	v_sub_f32_e32 v7, v7, v9
	v_sub_f32_e32 v9, v5, v8
	s_mov_b32 s2, 0x3fb8aa3b
	v_mul_f32_e32 v10, 0x3fb8aa3b, v9
	v_fma_f32 v11, v9, s2, -v10
	v_rndne_f32_e32 v12, v10
	v_fmac_f32_e32 v11, 0x32a5705f, v9
	v_sub_f32_e32 v10, v10, v12
	v_add_f32_e32 v10, v10, v11
	v_exp_f32_e32 v10, v10
	v_cvt_i32_f32_e32 v11, v12
	s_mov_b32 s0, 0x7f800000
	v_cmp_neq_f32_e64 vcc, |v5|, s0
	s_mov_b32 s0, 0xc2ce8ed0
	v_cndmask_b32_e32 v5, 0, v7, vcc
	v_ldexp_f32 v7, v10, v11
	v_cmp_ngt_f32_e32 vcc, s0, v9
	v_add_f32_e32 v5, v8, v5
	v_cndmask_b32_e32 v7, 0, v7, vcc
	v_mov_b32_e32 v8, 0x7f800000
	v_cmp_nlt_f32_e32 vcc, s1, v9
	v_cndmask_b32_e32 v7, v8, v7, vcc
	v_fma_f32 v5, v7, v5, v7
	v_cmp_class_f32_e64 vcc, v7, s6
	v_cndmask_b32_e32 v5, v5, v7, vcc
	v_trunc_f32_e32 v7, v4
	v_cmp_eq_f32_e32 vcc, v7, v4
	v_mul_f32_e32 v7, 0.5, v4
	v_trunc_f32_e32 v10, v7
	v_cmp_neq_f32_e64 s[0:1], v10, v7
	s_and_b64 s[0:1], vcc, s[0:1]
	v_cndmask_b32_e64 v7, 1.0, v3, s[0:1]
	s_brev_b32 s11, -2
	v_mov_b32_e32 v9, 0x7fc00000
	v_bfi_b32 v5, s11, v5, v7
	v_cmp_neq_f32_e64 s[2:3], v4, |v4|
	v_cmp_lt_f32_e64 s[26:27], |v3|, 1.0
	v_cndmask_b32_e32 v7, v9, v5, vcc
	v_cmp_gt_f32_e32 vcc, 0, v3
	s_xor_b64 s[2:3], s[2:3], s[26:27]
	v_cndmask_b32_e32 v5, v5, v7, vcc
	v_cndmask_b32_e64 v7, v8, 0, s[2:3]
	v_cmp_neq_f32_e64 vcc, |v3|, 1.0
	v_cndmask_b32_e32 v7, 1.0, v7, vcc
	v_cmp_class_f32_e64 vcc, v4, s6
	v_cndmask_b32_e32 v5, v5, v7, vcc
	v_cmp_eq_f32_e32 vcc, 0, v3
	v_cmp_gt_f32_e64 s[2:3], 0, v4
	s_xor_b64 s[2:3], s[2:3], vcc
	s_waitcnt vmcnt(0)
	v_cvt_f32_i32_e32 v6, v6
	v_cmp_class_f32_e64 s[26:27], v3, s6
	v_cndmask_b32_e64 v4, v8, 0, s[2:3]
	v_cndmask_b32_e64 v7, 0, v3, s[0:1]
	v_bfi_b32 v4, s11, v4, v7
	s_or_b64 vcc, vcc, s[26:27]
	v_cndmask_b32_e32 v4, v5, v4, vcc
	v_cmp_o_f32_e32 vcc, v3, v3
	v_cndmask_b32_e32 v3, v9, v4, vcc
	v_mul_f32_e32 v7, v3, v6
.LBB8_27:
	s_or_b64 exec, exec, s[20:21]
                                        ; implicit-def: $vgpr3
                                        ; implicit-def: $vgpr5
.LBB8_28:
	s_andn2_saveexec_b64 s[20:21], s[22:23]
	s_cbranch_execz .LBB8_30
; %bb.29:
	v_lshl_add_u32 v3, s10, 1, v3
	v_mov_b32_e32 v4, 0
	v_lshlrev_b64 v[3:4], 2, v[3:4]
	v_mov_b32_e32 v6, s25
	v_add_co_u32_e32 v3, vcc, s24, v3
	v_addc_co_u32_e32 v4, vcc, v6, v4, vcc
	global_load_dword v6, v[3:4], off
	v_cvt_f32_i32_e32 v3, v5
	v_cmp_neq_f32_e64 vcc, s9, 1.0
	v_mov_b32_e32 v5, s9
	s_mov_b32 s0, 0x3f2aaaab
	v_mul_f32_e32 v3, 0.5, v3
	v_cndmask_b32_e32 v4, 1.0, v3, vcc
	v_cmp_neq_f32_e32 vcc, 0, v4
	v_cndmask_b32_e32 v3, 1.0, v5, vcc
	v_frexp_mant_f32_e64 v5, |v3|
	v_cmp_gt_f32_e32 vcc, s0, v5
	v_cndmask_b32_e64 v11, 1.0, 2.0, vcc
	v_mul_f32_e32 v5, v5, v11
	v_add_f32_e32 v12, 1.0, v5
	v_cvt_f64_f32_e64 v[7:8], |v3|
	v_rcp_f32_e32 v13, v12
	v_add_f32_e32 v11, -1.0, v5
	v_add_f32_e32 v14, -1.0, v12
	v_frexp_exp_i32_f64_e32 v7, v[7:8]
	v_mul_f32_e32 v8, v11, v13
	v_sub_f32_e32 v5, v5, v14
	v_mul_f32_e32 v14, v12, v8
	v_fma_f32 v12, v8, v12, -v14
	v_fmac_f32_e32 v12, v8, v5
	v_add_f32_e32 v5, v14, v12
	v_sub_f32_e32 v15, v11, v5
	v_sub_f32_e32 v14, v5, v14
	;; [unrolled: 1-line block ×5, first 2 shown]
	v_add_f32_e32 v5, v12, v5
	v_add_f32_e32 v5, v15, v5
	v_mul_f32_e32 v5, v13, v5
	v_add_f32_e32 v11, v8, v5
	v_sub_f32_e32 v8, v11, v8
	v_mul_f32_e32 v12, v11, v11
	v_sub_f32_e32 v5, v5, v8
	v_fma_f32 v8, v11, v11, -v12
	v_add_f32_e32 v13, v5, v5
	v_fmac_f32_e32 v8, v11, v13
	v_mov_b32_e32 v9, 0x3e91f4c4
	v_add_f32_e32 v13, v12, v8
	v_mov_b32_e32 v10, 0x3ecccdef
	v_fmac_f32_e32 v9, 0x3e76c4e1, v13
	v_mul_f32_e32 v14, v11, v13
	v_sub_f32_e32 v12, v13, v12
	v_fmac_f32_e32 v10, v13, v9
	v_fma_f32 v9, v13, v11, -v14
	v_sub_f32_e32 v8, v8, v12
	v_fmac_f32_e32 v9, v13, v5
	v_mul_f32_e32 v12, v13, v10
	v_fmac_f32_e32 v9, v8, v11
	v_fma_f32 v13, v13, v10, -v12
	v_add_f32_e32 v15, v14, v9
	v_fmac_f32_e32 v13, v8, v10
	v_sub_f32_e32 v8, v15, v14
	v_add_f32_e32 v10, v12, v13
	v_sub_f32_e32 v8, v9, v8
	v_add_f32_e32 v9, 0x3f2aaaaa, v10
	v_sub_f32_e32 v12, v10, v12
	v_sub_f32_e32 v12, v13, v12
	v_add_f32_e32 v13, 0xbf2aaaaa, v9
	v_add_f32_e32 v12, 0x31739010, v12
	v_sub_f32_e32 v10, v10, v13
	v_subbrev_co_u32_e32 v7, vcc, 0, v7, vcc
	v_add_f32_e32 v10, v12, v10
	v_cvt_f32_i32_e32 v7, v7
	v_add_f32_e32 v12, v9, v10
	v_sub_f32_e32 v9, v9, v12
	v_mul_f32_e32 v13, v15, v12
	v_add_f32_e32 v9, v10, v9
	v_fma_f32 v10, v15, v12, -v13
	v_fmac_f32_e32 v10, v15, v9
	s_mov_b32 s1, 0x3f317218
	v_fmac_f32_e32 v10, v8, v12
	v_mul_f32_e32 v8, 0x3f317218, v7
	v_fma_f32 v9, v7, s1, -v8
	v_fmac_f32_e32 v9, 0xb102e308, v7
	v_ldexp_f32 v7, v11, 1
	v_add_f32_e32 v11, v8, v9
	v_sub_f32_e32 v8, v11, v8
	v_sub_f32_e32 v8, v9, v8
	v_add_f32_e32 v9, v13, v10
	v_sub_f32_e32 v12, v9, v13
	v_sub_f32_e32 v10, v10, v12
	v_add_f32_e32 v12, v7, v9
	v_ldexp_f32 v5, v5, 1
	v_sub_f32_e32 v7, v12, v7
	v_sub_f32_e32 v7, v9, v7
	v_add_f32_e32 v5, v5, v10
	v_add_f32_e32 v5, v5, v7
	;; [unrolled: 1-line block ×3, first 2 shown]
	v_sub_f32_e32 v9, v7, v12
	v_sub_f32_e32 v5, v5, v9
	v_add_f32_e32 v9, v11, v7
	v_sub_f32_e32 v10, v9, v11
	v_sub_f32_e32 v12, v9, v10
	;; [unrolled: 1-line block ×4, first 2 shown]
	v_add_f32_e32 v10, v8, v5
	v_add_f32_e32 v7, v7, v11
	v_sub_f32_e32 v11, v10, v8
	v_sub_f32_e32 v12, v10, v11
	;; [unrolled: 1-line block ×4, first 2 shown]
	v_add_f32_e32 v7, v10, v7
	v_add_f32_e32 v5, v5, v8
	;; [unrolled: 1-line block ×3, first 2 shown]
	v_sub_f32_e32 v9, v8, v9
	v_sub_f32_e32 v7, v7, v9
	v_add_f32_e32 v5, v5, v7
	v_add_f32_e32 v7, v8, v5
	v_sub_f32_e32 v8, v7, v8
	v_sub_f32_e32 v5, v5, v8
	v_mul_f32_e32 v8, v4, v7
	v_fma_f32 v7, v4, v7, -v8
	v_fmac_f32_e32 v7, v4, v5
	s_movk_i32 s6, 0x204
	v_add_f32_e32 v5, v8, v7
	v_cmp_class_f32_e64 vcc, v8, s6
	v_sub_f32_e32 v9, v5, v8
	v_cndmask_b32_e32 v5, v5, v8, vcc
	s_mov_b32 s1, 0x42b17218
	v_mov_b32_e32 v8, 0x37000000
	v_cmp_eq_f32_e32 vcc, s1, v5
	v_cndmask_b32_e32 v8, 0, v8, vcc
	v_sub_f32_e32 v7, v7, v9
	v_sub_f32_e32 v9, v5, v8
	s_mov_b32 s2, 0x3fb8aa3b
	v_mul_f32_e32 v10, 0x3fb8aa3b, v9
	v_fma_f32 v11, v9, s2, -v10
	v_rndne_f32_e32 v12, v10
	v_fmac_f32_e32 v11, 0x32a5705f, v9
	v_sub_f32_e32 v10, v10, v12
	v_add_f32_e32 v10, v10, v11
	v_exp_f32_e32 v10, v10
	v_cvt_i32_f32_e32 v11, v12
	s_mov_b32 s0, 0x7f800000
	v_cmp_neq_f32_e64 vcc, |v5|, s0
	s_mov_b32 s0, 0xc2ce8ed0
	v_cndmask_b32_e32 v5, 0, v7, vcc
	v_ldexp_f32 v7, v10, v11
	v_cmp_ngt_f32_e32 vcc, s0, v9
	v_add_f32_e32 v5, v8, v5
	v_cndmask_b32_e32 v7, 0, v7, vcc
	v_mov_b32_e32 v8, 0x7f800000
	v_cmp_nlt_f32_e32 vcc, s1, v9
	v_cndmask_b32_e32 v7, v8, v7, vcc
	v_fma_f32 v5, v7, v5, v7
	v_cmp_class_f32_e64 vcc, v7, s6
	v_cndmask_b32_e32 v5, v5, v7, vcc
	v_trunc_f32_e32 v7, v4
	v_cmp_eq_f32_e32 vcc, v7, v4
	v_mul_f32_e32 v7, 0.5, v4
	v_trunc_f32_e32 v10, v7
	v_cmp_neq_f32_e64 s[0:1], v10, v7
	s_and_b64 s[0:1], vcc, s[0:1]
	v_cndmask_b32_e64 v7, 1.0, v3, s[0:1]
	s_brev_b32 s11, -2
	v_mov_b32_e32 v9, 0x7fc00000
	v_bfi_b32 v5, s11, v5, v7
	v_cmp_neq_f32_e64 s[2:3], v4, |v4|
	v_cmp_lt_f32_e64 s[22:23], |v3|, 1.0
	v_cndmask_b32_e32 v7, v9, v5, vcc
	v_cmp_gt_f32_e32 vcc, 0, v3
	s_xor_b64 s[2:3], s[2:3], s[22:23]
	v_cndmask_b32_e32 v5, v5, v7, vcc
	v_cndmask_b32_e64 v7, v8, 0, s[2:3]
	v_cmp_neq_f32_e64 vcc, |v3|, 1.0
	v_cndmask_b32_e32 v7, 1.0, v7, vcc
	v_cmp_class_f32_e64 vcc, v4, s6
	v_cndmask_b32_e32 v5, v5, v7, vcc
	v_cmp_eq_f32_e32 vcc, 0, v3
	v_cmp_gt_f32_e64 s[2:3], 0, v4
	s_xor_b64 s[2:3], s[2:3], vcc
	s_waitcnt vmcnt(0)
	v_cvt_f32_i32_e32 v6, v6
	v_cmp_class_f32_e64 s[22:23], v3, s6
	v_cndmask_b32_e64 v4, v8, 0, s[2:3]
	v_cndmask_b32_e64 v7, 0, v3, s[0:1]
	v_bfi_b32 v4, s11, v4, v7
	s_or_b64 vcc, vcc, s[22:23]
	v_cndmask_b32_e32 v4, v5, v4, vcc
	v_cmp_o_f32_e32 vcc, v3, v3
	v_cndmask_b32_e32 v3, v9, v4, vcc
	v_mul_f32_e32 v7, v3, v6
.LBB8_30:
	s_or_b64 exec, exec, s[20:21]
                                        ; implicit-def: $vgpr3
                                        ; implicit-def: $vgpr5
.LBB8_31:
	s_andn2_saveexec_b64 s[4:5], s[4:5]
	s_cbranch_execz .LBB8_33
; %bb.32:
	v_add_u32_e32 v3, s10, v3
	v_mov_b32_e32 v4, 0
	v_lshlrev_b64 v[3:4], 2, v[3:4]
	v_mov_b32_e32 v6, s25
	v_add_co_u32_e32 v3, vcc, s24, v3
	v_addc_co_u32_e32 v4, vcc, v6, v4, vcc
	global_load_dword v6, v[3:4], off
	v_cvt_f32_i32_e32 v3, v5
	v_cmp_neq_f32_e64 vcc, s9, 1.0
	v_mov_b32_e32 v5, s9
	s_mov_b32 s0, 0x3f2aaaab
	v_mul_f32_e32 v3, 0.5, v3
	v_cndmask_b32_e32 v4, 1.0, v3, vcc
	v_cmp_neq_f32_e32 vcc, 0, v4
	v_cndmask_b32_e32 v3, 1.0, v5, vcc
	v_frexp_mant_f32_e64 v5, |v3|
	v_cmp_gt_f32_e32 vcc, s0, v5
	v_cndmask_b32_e64 v11, 1.0, 2.0, vcc
	v_mul_f32_e32 v5, v5, v11
	v_add_f32_e32 v12, 1.0, v5
	v_cvt_f64_f32_e64 v[7:8], |v3|
	v_rcp_f32_e32 v13, v12
	v_add_f32_e32 v11, -1.0, v5
	v_add_f32_e32 v14, -1.0, v12
	v_frexp_exp_i32_f64_e32 v7, v[7:8]
	v_mul_f32_e32 v8, v11, v13
	v_sub_f32_e32 v5, v5, v14
	v_mul_f32_e32 v14, v12, v8
	v_fma_f32 v12, v8, v12, -v14
	v_fmac_f32_e32 v12, v8, v5
	v_add_f32_e32 v5, v14, v12
	v_sub_f32_e32 v15, v11, v5
	v_sub_f32_e32 v14, v5, v14
	;; [unrolled: 1-line block ×5, first 2 shown]
	v_add_f32_e32 v5, v12, v5
	v_add_f32_e32 v5, v15, v5
	v_mul_f32_e32 v5, v13, v5
	v_add_f32_e32 v11, v8, v5
	v_sub_f32_e32 v8, v11, v8
	v_mul_f32_e32 v12, v11, v11
	v_sub_f32_e32 v5, v5, v8
	v_fma_f32 v8, v11, v11, -v12
	v_add_f32_e32 v13, v5, v5
	v_fmac_f32_e32 v8, v11, v13
	v_mov_b32_e32 v9, 0x3e91f4c4
	v_add_f32_e32 v13, v12, v8
	v_mov_b32_e32 v10, 0x3ecccdef
	v_fmac_f32_e32 v9, 0x3e76c4e1, v13
	v_mul_f32_e32 v14, v11, v13
	v_sub_f32_e32 v12, v13, v12
	v_fmac_f32_e32 v10, v13, v9
	v_fma_f32 v9, v13, v11, -v14
	v_sub_f32_e32 v8, v8, v12
	v_fmac_f32_e32 v9, v13, v5
	v_mul_f32_e32 v12, v13, v10
	v_fmac_f32_e32 v9, v8, v11
	v_fma_f32 v13, v13, v10, -v12
	v_add_f32_e32 v15, v14, v9
	v_fmac_f32_e32 v13, v8, v10
	v_sub_f32_e32 v8, v15, v14
	v_add_f32_e32 v10, v12, v13
	v_sub_f32_e32 v8, v9, v8
	v_add_f32_e32 v9, 0x3f2aaaaa, v10
	v_sub_f32_e32 v12, v10, v12
	v_sub_f32_e32 v12, v13, v12
	v_add_f32_e32 v13, 0xbf2aaaaa, v9
	v_add_f32_e32 v12, 0x31739010, v12
	v_sub_f32_e32 v10, v10, v13
	v_subbrev_co_u32_e32 v7, vcc, 0, v7, vcc
	v_add_f32_e32 v10, v12, v10
	v_cvt_f32_i32_e32 v7, v7
	v_add_f32_e32 v12, v9, v10
	v_sub_f32_e32 v9, v9, v12
	v_mul_f32_e32 v13, v15, v12
	v_add_f32_e32 v9, v10, v9
	v_fma_f32 v10, v15, v12, -v13
	v_fmac_f32_e32 v10, v15, v9
	s_mov_b32 s1, 0x3f317218
	v_fmac_f32_e32 v10, v8, v12
	v_mul_f32_e32 v8, 0x3f317218, v7
	v_fma_f32 v9, v7, s1, -v8
	v_fmac_f32_e32 v9, 0xb102e308, v7
	v_ldexp_f32 v7, v11, 1
	v_add_f32_e32 v11, v8, v9
	v_sub_f32_e32 v8, v11, v8
	v_sub_f32_e32 v8, v9, v8
	v_add_f32_e32 v9, v13, v10
	v_sub_f32_e32 v12, v9, v13
	v_sub_f32_e32 v10, v10, v12
	v_add_f32_e32 v12, v7, v9
	v_ldexp_f32 v5, v5, 1
	v_sub_f32_e32 v7, v12, v7
	v_sub_f32_e32 v7, v9, v7
	v_add_f32_e32 v5, v5, v10
	v_add_f32_e32 v5, v5, v7
	;; [unrolled: 1-line block ×3, first 2 shown]
	v_sub_f32_e32 v9, v7, v12
	v_sub_f32_e32 v5, v5, v9
	v_add_f32_e32 v9, v11, v7
	v_sub_f32_e32 v10, v9, v11
	v_sub_f32_e32 v12, v9, v10
	;; [unrolled: 1-line block ×4, first 2 shown]
	v_add_f32_e32 v10, v8, v5
	v_add_f32_e32 v7, v7, v11
	v_sub_f32_e32 v11, v10, v8
	v_sub_f32_e32 v12, v10, v11
	;; [unrolled: 1-line block ×4, first 2 shown]
	v_add_f32_e32 v7, v10, v7
	v_add_f32_e32 v5, v5, v8
	;; [unrolled: 1-line block ×3, first 2 shown]
	v_sub_f32_e32 v9, v8, v9
	v_sub_f32_e32 v7, v7, v9
	v_add_f32_e32 v5, v5, v7
	v_add_f32_e32 v7, v8, v5
	v_sub_f32_e32 v8, v7, v8
	v_sub_f32_e32 v5, v5, v8
	v_mul_f32_e32 v8, v4, v7
	v_fma_f32 v7, v4, v7, -v8
	v_fmac_f32_e32 v7, v4, v5
	s_movk_i32 s6, 0x204
	v_add_f32_e32 v5, v8, v7
	v_cmp_class_f32_e64 vcc, v8, s6
	v_sub_f32_e32 v9, v5, v8
	v_cndmask_b32_e32 v5, v5, v8, vcc
	s_mov_b32 s1, 0x42b17218
	v_mov_b32_e32 v8, 0x37000000
	v_cmp_eq_f32_e32 vcc, s1, v5
	v_cndmask_b32_e32 v8, 0, v8, vcc
	v_sub_f32_e32 v7, v7, v9
	v_sub_f32_e32 v9, v5, v8
	s_mov_b32 s2, 0x3fb8aa3b
	v_mul_f32_e32 v10, 0x3fb8aa3b, v9
	v_fma_f32 v11, v9, s2, -v10
	v_rndne_f32_e32 v12, v10
	v_fmac_f32_e32 v11, 0x32a5705f, v9
	v_sub_f32_e32 v10, v10, v12
	v_add_f32_e32 v10, v10, v11
	v_exp_f32_e32 v10, v10
	v_cvt_i32_f32_e32 v11, v12
	s_mov_b32 s0, 0x7f800000
	v_cmp_neq_f32_e64 vcc, |v5|, s0
	s_mov_b32 s0, 0xc2ce8ed0
	v_cndmask_b32_e32 v5, 0, v7, vcc
	v_ldexp_f32 v7, v10, v11
	v_cmp_ngt_f32_e32 vcc, s0, v9
	v_add_f32_e32 v5, v8, v5
	v_cndmask_b32_e32 v7, 0, v7, vcc
	v_mov_b32_e32 v8, 0x7f800000
	v_cmp_nlt_f32_e32 vcc, s1, v9
	v_cndmask_b32_e32 v7, v8, v7, vcc
	v_fma_f32 v5, v7, v5, v7
	v_cmp_class_f32_e64 vcc, v7, s6
	v_cndmask_b32_e32 v5, v5, v7, vcc
	v_trunc_f32_e32 v7, v4
	v_cmp_eq_f32_e32 vcc, v7, v4
	v_mul_f32_e32 v7, 0.5, v4
	v_trunc_f32_e32 v10, v7
	v_cmp_neq_f32_e64 s[0:1], v10, v7
	s_and_b64 s[0:1], vcc, s[0:1]
	v_cndmask_b32_e64 v7, 1.0, v3, s[0:1]
	s_brev_b32 s9, -2
	v_mov_b32_e32 v9, 0x7fc00000
	v_bfi_b32 v5, s9, v5, v7
	v_cmp_neq_f32_e64 s[2:3], v4, |v4|
	v_cmp_lt_f32_e64 s[10:11], |v3|, 1.0
	v_cndmask_b32_e32 v7, v9, v5, vcc
	v_cmp_gt_f32_e32 vcc, 0, v3
	s_xor_b64 s[2:3], s[2:3], s[10:11]
	v_cndmask_b32_e32 v5, v5, v7, vcc
	v_cndmask_b32_e64 v7, v8, 0, s[2:3]
	v_cmp_neq_f32_e64 vcc, |v3|, 1.0
	v_cndmask_b32_e32 v7, 1.0, v7, vcc
	v_cmp_class_f32_e64 vcc, v4, s6
	v_cndmask_b32_e32 v5, v5, v7, vcc
	v_cmp_eq_f32_e32 vcc, 0, v3
	v_cmp_gt_f32_e64 s[2:3], 0, v4
	s_xor_b64 s[2:3], s[2:3], vcc
	s_waitcnt vmcnt(0)
	v_cvt_f32_i32_e32 v6, v6
	v_cmp_class_f32_e64 s[10:11], v3, s6
	v_cndmask_b32_e64 v4, v8, 0, s[2:3]
	v_cndmask_b32_e64 v7, 0, v3, s[0:1]
	v_bfi_b32 v4, s9, v4, v7
	s_or_b64 vcc, vcc, s[10:11]
	v_cndmask_b32_e32 v4, v5, v4, vcc
	v_cmp_o_f32_e32 vcc, v3, v3
	v_cndmask_b32_e32 v3, v9, v4, vcc
	v_mul_f32_e32 v7, v3, v6
.LBB8_33:
	s_or_b64 exec, exec, s[4:5]
	v_cmp_eq_f32_e64 s[0:1], s13, 0
	v_mul_f32_e32 v3, s12, v7
	s_and_b64 vcc, exec, s[0:1]
	s_cbranch_vccz .LBB8_19
.LBB8_34:
	v_mov_b32_e32 v4, s14
.LBB8_35:
	v_and_b32_e32 v5, 0x7fffffff, v3
	s_brev_b32 s0, 18
	v_cmp_nlt_f32_e64 s[8:9], |v3|, s0
	v_lshrrev_b32_e32 v2, 23, v5
                                        ; implicit-def: $vgpr7
                                        ; implicit-def: $vgpr6
	s_and_saveexec_b64 s[0:1], s[8:9]
	s_xor_b64 s[10:11], exec, s[0:1]
	s_cbranch_execz .LBB8_37
; %bb.36:
	v_and_b32_e32 v6, 0x7fffff, v5
	v_or_b32_e32 v15, 0x800000, v6
	s_mov_b32 s0, 0xfe5163ab
	v_mad_u64_u32 v[6:7], s[0:1], v15, s0, 0
	v_mov_b32_e32 v8, 0
	s_mov_b32 s0, 0x3c439041
	v_mad_u64_u32 v[9:10], s[0:1], v15, s0, v[7:8]
	s_mov_b32 s0, 0xdb629599
	v_add_u32_e32 v14, 0xffffff88, v2
	v_mov_b32_e32 v7, v10
	v_mad_u64_u32 v[10:11], s[0:1], v15, s0, v[7:8]
	s_mov_b32 s0, 0xf534ddc0
	v_not_b32_e32 v16, 63
	v_mov_b32_e32 v7, v11
	v_mad_u64_u32 v[11:12], s[0:1], v15, s0, v[7:8]
	s_mov_b32 s0, 0xfc2757d1
	v_cmp_lt_u32_e32 vcc, 63, v14
	v_mov_b32_e32 v7, v12
	v_mad_u64_u32 v[12:13], s[0:1], v15, s0, v[7:8]
	v_cndmask_b32_e32 v7, 0, v16, vcc
	v_add_u32_e32 v16, v7, v14
	v_mov_b32_e32 v7, v13
	s_mov_b32 s0, 0x4e441529
	v_mad_u64_u32 v[13:14], s[0:1], v15, s0, v[7:8]
	v_not_b32_e32 v17, 31
	v_cmp_lt_u32_e64 s[0:1], 31, v16
	v_cndmask_b32_e64 v7, 0, v17, s[0:1]
	v_add_u32_e32 v16, v7, v16
	v_mov_b32_e32 v7, v14
	s_mov_b32 s2, 0xa2f9836e
	v_mad_u64_u32 v[7:8], s[2:3], v15, s2, v[7:8]
	v_cmp_lt_u32_e64 s[2:3], 31, v16
	v_cndmask_b32_e64 v14, 0, v17, s[2:3]
	v_cndmask_b32_e32 v15, v13, v11, vcc
	v_cndmask_b32_e32 v7, v7, v12, vcc
	;; [unrolled: 1-line block ×3, first 2 shown]
	v_add_u32_e32 v14, v14, v16
	v_cndmask_b32_e64 v16, v7, v15, s[0:1]
	v_cndmask_b32_e64 v7, v8, v7, s[0:1]
	v_cndmask_b32_e32 v8, v12, v10, vcc
	v_cndmask_b32_e64 v12, v15, v8, s[0:1]
	v_cndmask_b32_e32 v9, v11, v9, vcc
	v_cndmask_b32_e64 v7, v7, v16, s[2:3]
	v_cndmask_b32_e64 v13, v16, v12, s[2:3]
	v_sub_u32_e32 v15, 32, v14
	v_cndmask_b32_e64 v8, v8, v9, s[0:1]
	v_alignbit_b32 v16, v7, v13, v15
	v_cmp_eq_u32_e64 s[4:5], 0, v14
	v_cndmask_b32_e64 v11, v12, v8, s[2:3]
	v_cndmask_b32_e64 v7, v16, v7, s[4:5]
	v_alignbit_b32 v12, v13, v11, v15
	v_cndmask_b32_e32 v6, v10, v6, vcc
	v_cndmask_b32_e64 v12, v12, v13, s[4:5]
	v_bfe_u32 v16, v7, 29, 1
	v_cndmask_b32_e64 v6, v9, v6, s[0:1]
	v_alignbit_b32 v13, v7, v12, 30
	v_sub_u32_e32 v17, 0, v16
	v_cndmask_b32_e64 v6, v8, v6, s[2:3]
	v_xor_b32_e32 v13, v13, v17
	v_alignbit_b32 v8, v11, v6, v15
	v_cndmask_b32_e64 v8, v8, v11, s[4:5]
	v_ffbh_u32_e32 v10, v13
	v_alignbit_b32 v9, v12, v8, 30
	v_min_u32_e32 v10, 32, v10
	v_alignbit_b32 v6, v8, v6, 30
	v_xor_b32_e32 v9, v9, v17
	v_sub_u32_e32 v11, 31, v10
	v_xor_b32_e32 v6, v6, v17
	v_alignbit_b32 v12, v13, v9, v11
	v_alignbit_b32 v6, v9, v6, v11
	;; [unrolled: 1-line block ×3, first 2 shown]
	v_ffbh_u32_e32 v9, v8
	v_min_u32_e32 v9, 32, v9
	v_lshrrev_b32_e32 v14, 29, v7
	v_not_b32_e32 v11, v9
	v_alignbit_b32 v6, v8, v6, v11
	v_lshlrev_b32_e32 v8, 31, v14
	v_or_b32_e32 v11, 0x33000000, v8
	v_add_lshl_u32 v9, v9, v10, 23
	v_lshrrev_b32_e32 v6, 9, v6
	v_sub_u32_e32 v9, v11, v9
	v_or_b32_e32 v8, 0.5, v8
	v_lshlrev_b32_e32 v10, 23, v10
	v_or_b32_e32 v6, v9, v6
	v_lshrrev_b32_e32 v9, 9, v12
	v_sub_u32_e32 v8, v8, v10
	v_or_b32_e32 v8, v9, v8
	s_mov_b32 s0, 0x3fc90fda
	v_mul_f32_e32 v9, 0x3fc90fda, v8
	v_fma_f32 v10, v8, s0, -v9
	v_fmac_f32_e32 v10, 0x33a22168, v8
	v_fmac_f32_e32 v10, 0x3fc90fda, v6
	v_lshrrev_b32_e32 v7, 30, v7
	v_add_f32_e32 v6, v9, v10
	v_add_u32_e32 v7, v16, v7
	s_andn2_saveexec_b64 s[0:1], s[10:11]
	s_cbranch_execz .LBB8_39
	s_branch .LBB8_38
.LBB8_37:
	s_andn2_saveexec_b64 s[0:1], s[10:11]
	s_cbranch_execz .LBB8_39
.LBB8_38:
	s_mov_b32 s2, 0x3f22f983
	v_mul_f32_e64 v6, |v3|, s2
	v_rndne_f32_e32 v8, v6
	s_mov_b32 s2, 0xbfc90fda
	v_cvt_i32_f32_e32 v7, v8
	v_fma_f32 v6, v8, s2, |v3|
	v_fmac_f32_e32 v6, 0xb3a22168, v8
	v_fmac_f32_e32 v6, 0xa7c234c4, v8
.LBB8_39:
	s_or_b64 exec, exec, s[0:1]
                                        ; implicit-def: $vgpr9
                                        ; implicit-def: $vgpr8
	s_and_saveexec_b64 s[0:1], s[8:9]
	s_xor_b64 s[8:9], exec, s[0:1]
	s_cbranch_execz .LBB8_41
; %bb.40:
	v_and_b32_e32 v8, 0x7fffff, v5
	v_or_b32_e32 v17, 0x800000, v8
	s_mov_b32 s0, 0xfe5163ab
	v_mad_u64_u32 v[8:9], s[0:1], v17, s0, 0
	v_mov_b32_e32 v10, 0
	s_mov_b32 s0, 0x3c439041
	v_mad_u64_u32 v[11:12], s[0:1], v17, s0, v[9:10]
	s_mov_b32 s0, 0xdb629599
	v_add_u32_e32 v2, 0xffffff88, v2
	v_mov_b32_e32 v9, v12
	v_mad_u64_u32 v[12:13], s[0:1], v17, s0, v[9:10]
	s_mov_b32 s0, 0xf534ddc0
	v_not_b32_e32 v16, 63
	v_mov_b32_e32 v9, v13
	v_mad_u64_u32 v[13:14], s[0:1], v17, s0, v[9:10]
	s_mov_b32 s0, 0xfc2757d1
	v_cmp_lt_u32_e32 vcc, 63, v2
	v_mov_b32_e32 v9, v14
	v_mad_u64_u32 v[14:15], s[0:1], v17, s0, v[9:10]
	v_cndmask_b32_e32 v9, 0, v16, vcc
	v_add_u32_e32 v2, v9, v2
	v_mov_b32_e32 v9, v15
	s_mov_b32 s0, 0x4e441529
	v_mad_u64_u32 v[15:16], s[0:1], v17, s0, v[9:10]
	v_not_b32_e32 v18, 31
	v_cmp_lt_u32_e64 s[0:1], 31, v2
	v_cndmask_b32_e64 v9, 0, v18, s[0:1]
	v_add_u32_e32 v2, v9, v2
	v_mov_b32_e32 v9, v16
	s_mov_b32 s2, 0xa2f9836e
	v_mad_u64_u32 v[9:10], s[2:3], v17, s2, v[9:10]
	v_cmp_lt_u32_e64 s[2:3], 31, v2
	v_cndmask_b32_e64 v16, 0, v18, s[2:3]
	v_add_u32_e32 v2, v16, v2
	v_cndmask_b32_e32 v16, v15, v13, vcc
	v_cndmask_b32_e32 v9, v9, v14, vcc
	;; [unrolled: 1-line block ×3, first 2 shown]
	v_cndmask_b32_e64 v17, v9, v16, s[0:1]
	v_cndmask_b32_e64 v9, v10, v9, s[0:1]
	v_cndmask_b32_e32 v10, v14, v12, vcc
	v_cndmask_b32_e64 v14, v16, v10, s[0:1]
	v_cndmask_b32_e64 v9, v9, v17, s[2:3]
	;; [unrolled: 1-line block ×3, first 2 shown]
	v_sub_u32_e32 v16, 32, v2
	v_alignbit_b32 v17, v9, v15, v16
	v_cmp_eq_u32_e64 s[4:5], 0, v2
	v_cndmask_b32_e64 v2, v17, v9, s[4:5]
	v_cndmask_b32_e32 v9, v13, v11, vcc
	v_cndmask_b32_e64 v10, v10, v9, s[0:1]
	v_cndmask_b32_e64 v11, v14, v10, s[2:3]
	v_alignbit_b32 v13, v15, v11, v16
	v_cndmask_b32_e32 v8, v12, v8, vcc
	v_cndmask_b32_e64 v13, v13, v15, s[4:5]
	v_bfe_u32 v17, v2, 29, 1
	v_cndmask_b32_e64 v8, v9, v8, s[0:1]
	v_alignbit_b32 v14, v2, v13, 30
	v_sub_u32_e32 v18, 0, v17
	v_cndmask_b32_e64 v8, v10, v8, s[2:3]
	v_xor_b32_e32 v14, v14, v18
	v_alignbit_b32 v9, v11, v8, v16
	v_cndmask_b32_e64 v9, v9, v11, s[4:5]
	v_ffbh_u32_e32 v11, v14
	v_alignbit_b32 v10, v13, v9, 30
	v_min_u32_e32 v11, 32, v11
	v_alignbit_b32 v8, v9, v8, 30
	v_xor_b32_e32 v10, v10, v18
	v_sub_u32_e32 v12, 31, v11
	v_xor_b32_e32 v8, v8, v18
	v_alignbit_b32 v13, v14, v10, v12
	v_alignbit_b32 v8, v10, v8, v12
	;; [unrolled: 1-line block ×3, first 2 shown]
	v_ffbh_u32_e32 v10, v9
	v_min_u32_e32 v10, 32, v10
	v_lshrrev_b32_e32 v15, 29, v2
	v_not_b32_e32 v12, v10
	v_alignbit_b32 v8, v9, v8, v12
	v_lshlrev_b32_e32 v9, 31, v15
	v_or_b32_e32 v12, 0x33000000, v9
	v_add_lshl_u32 v10, v10, v11, 23
	v_lshrrev_b32_e32 v8, 9, v8
	v_sub_u32_e32 v10, v12, v10
	v_or_b32_e32 v9, 0.5, v9
	v_lshlrev_b32_e32 v11, 23, v11
	v_or_b32_e32 v8, v10, v8
	v_lshrrev_b32_e32 v10, 9, v13
	v_sub_u32_e32 v9, v9, v11
	v_or_b32_e32 v9, v10, v9
	s_mov_b32 s0, 0x3fc90fda
	v_mul_f32_e32 v10, 0x3fc90fda, v9
	v_fma_f32 v11, v9, s0, -v10
	v_fmac_f32_e32 v11, 0x33a22168, v9
	v_fmac_f32_e32 v11, 0x3fc90fda, v8
	v_lshrrev_b32_e32 v2, 30, v2
	v_add_f32_e32 v8, v10, v11
	v_add_u32_e32 v9, v17, v2
	s_andn2_saveexec_b64 s[0:1], s[8:9]
	s_cbranch_execnz .LBB8_42
	s_branch .LBB8_43
.LBB8_41:
	s_andn2_saveexec_b64 s[0:1], s[8:9]
	s_cbranch_execz .LBB8_43
.LBB8_42:
	s_mov_b32 s2, 0x3f22f983
	v_mul_f32_e64 v2, |v3|, s2
	v_rndne_f32_e32 v2, v2
	s_mov_b32 s2, 0xbfc90fda
	v_cvt_i32_f32_e32 v9, v2
	v_fma_f32 v8, v2, s2, |v3|
	v_fmac_f32_e32 v8, 0xb3a22168, v2
	v_fmac_f32_e32 v8, 0xa7c234c4, v2
.LBB8_43:
	s_or_b64 exec, exec, s[0:1]
	v_ashrrev_i32_e32 v2, 31, v1
	s_lshr_b32 s0, s7, 31
	v_lshlrev_b64 v[1:2], 1, v[1:2]
	s_add_i32 s0, s7, s0
	s_ashr_i32 s0, s0, 1
	v_mov_b32_e32 v10, s17
	v_add_co_u32_e32 v1, vcc, s16, v1
	s_ashr_i32 s1, s0, 31
	v_addc_co_u32_e32 v2, vcc, v10, v2, vcc
	s_lshl_b64 s[0:1], s[0:1], 1
	global_load_ushort v10, v[1:2], off
	v_mov_b32_e32 v11, s1
	v_add_co_u32_e32 v1, vcc, s0, v1
	v_addc_co_u32_e32 v2, vcc, v2, v11, vcc
	global_load_ushort v2, v[1:2], off
	v_ashrrev_i32_e32 v1, 31, v0
	v_lshlrev_b64 v[0:1], 1, v[0:1]
	v_mov_b32_e32 v17, s19
	v_add_co_u32_e32 v0, vcc, s18, v0
	v_mul_f32_e32 v12, v6, v6
	v_mov_b32_e32 v16, 0xbab64f3b
	v_addc_co_u32_e32 v1, vcc, v17, v1, vcc
	v_mov_b32_e32 v17, 0xbab64f3b
	v_mul_f32_e32 v19, v8, v8
	v_mov_b32_e32 v13, 0x3c0881c4
	v_mov_b32_e32 v14, 0x3c0881c4
	;; [unrolled: 1-line block ×3, first 2 shown]
	v_fmac_f32_e32 v17, 0x37d75334, v12
	v_fmac_f32_e32 v16, 0x37d75334, v19
	v_mov_b32_e32 v15, 0xbe2aaa9d
	v_fmac_f32_e32 v14, 0xb94c1982, v12
	v_fmac_f32_e32 v13, 0xb94c1982, v19
	v_fma_f32 v17, v12, v17, v18
	v_fmac_f32_e32 v18, v19, v16
	v_lshlrev_b32_e32 v16, 30, v9
	v_fma_f32 v14, v12, v14, v15
	v_fmac_f32_e32 v15, v19, v13
	v_mov_b32_e32 v13, 0xbf000004
	v_xor_b32_e32 v5, v5, v3
	v_and_b32_e32 v16, 0x80000000, v16
	v_xor_b32_e32 v5, v5, v16
	v_and_b32_e32 v16, 1, v7
	v_fma_f32 v17, v12, v17, v13
	v_mul_f32_e32 v14, v12, v14
	v_fmac_f32_e32 v13, v19, v18
	v_and_b32_e32 v9, 1, v9
	v_mul_f32_e32 v15, v19, v15
	v_fmac_f32_e32 v6, v6, v14
	v_fma_f32 v12, v12, v17, 1.0
	v_cmp_eq_u32_e32 vcc, 0, v16
	v_fmac_f32_e32 v8, v8, v15
	v_fma_f32 v13, v19, v13, 1.0
	v_cndmask_b32_e64 v6, -v6, v12, vcc
	v_cmp_eq_u32_e32 vcc, 0, v9
	v_lshlrev_b32_e32 v7, 30, v7
	v_cndmask_b32_e32 v8, v13, v8, vcc
	v_and_b32_e32 v7, 0x80000000, v7
	v_xor_b32_e32 v8, v5, v8
	v_add_co_u32_e32 v5, vcc, s0, v0
	s_movk_i32 s1, 0x1f8
	v_xor_b32_e32 v7, v7, v6
	v_addc_co_u32_e32 v6, vcc, v1, v11, vcc
	v_mov_b32_e32 v18, 0x7fc00000
	v_cmp_class_f32_e64 vcc, v3, s1
	v_cndmask_b32_e32 v3, v18, v7, vcc
	v_cndmask_b32_e32 v7, v18, v8, vcc
	v_mul_f32_e32 v3, v4, v3
	v_mul_f32_e32 v4, v4, v7
	s_waitcnt vmcnt(1)
	v_cvt_f32_f16_e32 v8, v10
	v_mul_f32_e32 v7, v4, v8
	s_waitcnt vmcnt(0)
	v_cvt_f32_f16_e32 v9, v2
	v_fma_mixlo_f16 v2, v3, v2, v7 op_sel_hi:[0,1,0]
	v_mul_f32_e32 v4, v4, v9
	v_fma_mixlo_f16 v3, v3, v10, -v4 op_sel_hi:[0,1,0]
	global_store_short v[0:1], v3, off
	global_store_short v[5:6], v2, off
.LBB8_44:
	s_endpgm
	.section	.rodata,"a",@progbits
	.p2align	6, 0x0
	.amdhsa_kernel _ZL10rope_multiILb1ELb0E6__halfEvPKT1_PS1_iiiiiiiiiiPKifff14rope_corr_dimsfPKf14mrope_sectionsb
		.amdhsa_group_segment_fixed_size 0
		.amdhsa_private_segment_fixed_size 0
		.amdhsa_kernarg_size 376
		.amdhsa_user_sgpr_count 6
		.amdhsa_user_sgpr_private_segment_buffer 1
		.amdhsa_user_sgpr_dispatch_ptr 0
		.amdhsa_user_sgpr_queue_ptr 0
		.amdhsa_user_sgpr_kernarg_segment_ptr 1
		.amdhsa_user_sgpr_dispatch_id 0
		.amdhsa_user_sgpr_flat_scratch_init 0
		.amdhsa_user_sgpr_private_segment_size 0
		.amdhsa_uses_dynamic_stack 0
		.amdhsa_system_sgpr_private_segment_wavefront_offset 0
		.amdhsa_system_sgpr_workgroup_id_x 1
		.amdhsa_system_sgpr_workgroup_id_y 1
		.amdhsa_system_sgpr_workgroup_id_z 0
		.amdhsa_system_sgpr_workgroup_info 0
		.amdhsa_system_vgpr_workitem_id 1
		.amdhsa_next_free_vgpr 20
		.amdhsa_next_free_sgpr 32
		.amdhsa_reserve_vcc 1
		.amdhsa_reserve_flat_scratch 0
		.amdhsa_float_round_mode_32 0
		.amdhsa_float_round_mode_16_64 0
		.amdhsa_float_denorm_mode_32 3
		.amdhsa_float_denorm_mode_16_64 3
		.amdhsa_dx10_clamp 1
		.amdhsa_ieee_mode 1
		.amdhsa_fp16_overflow 0
		.amdhsa_exception_fp_ieee_invalid_op 0
		.amdhsa_exception_fp_denorm_src 0
		.amdhsa_exception_fp_ieee_div_zero 0
		.amdhsa_exception_fp_ieee_overflow 0
		.amdhsa_exception_fp_ieee_underflow 0
		.amdhsa_exception_fp_ieee_inexact 0
		.amdhsa_exception_int_div_zero 0
	.end_amdhsa_kernel
	.section	.text._ZL10rope_multiILb1ELb0E6__halfEvPKT1_PS1_iiiiiiiiiiPKifff14rope_corr_dimsfPKf14mrope_sectionsb,"axG",@progbits,_ZL10rope_multiILb1ELb0E6__halfEvPKT1_PS1_iiiiiiiiiiPKifff14rope_corr_dimsfPKf14mrope_sectionsb,comdat
.Lfunc_end8:
	.size	_ZL10rope_multiILb1ELb0E6__halfEvPKT1_PS1_iiiiiiiiiiPKifff14rope_corr_dimsfPKf14mrope_sectionsb, .Lfunc_end8-_ZL10rope_multiILb1ELb0E6__halfEvPKT1_PS1_iiiiiiiiiiPKifff14rope_corr_dimsfPKf14mrope_sectionsb
                                        ; -- End function
	.set _ZL10rope_multiILb1ELb0E6__halfEvPKT1_PS1_iiiiiiiiiiPKifff14rope_corr_dimsfPKf14mrope_sectionsb.num_vgpr, 20
	.set _ZL10rope_multiILb1ELb0E6__halfEvPKT1_PS1_iiiiiiiiiiPKifff14rope_corr_dimsfPKf14mrope_sectionsb.num_agpr, 0
	.set _ZL10rope_multiILb1ELb0E6__halfEvPKT1_PS1_iiiiiiiiiiPKifff14rope_corr_dimsfPKf14mrope_sectionsb.numbered_sgpr, 32
	.set _ZL10rope_multiILb1ELb0E6__halfEvPKT1_PS1_iiiiiiiiiiPKifff14rope_corr_dimsfPKf14mrope_sectionsb.num_named_barrier, 0
	.set _ZL10rope_multiILb1ELb0E6__halfEvPKT1_PS1_iiiiiiiiiiPKifff14rope_corr_dimsfPKf14mrope_sectionsb.private_seg_size, 0
	.set _ZL10rope_multiILb1ELb0E6__halfEvPKT1_PS1_iiiiiiiiiiPKifff14rope_corr_dimsfPKf14mrope_sectionsb.uses_vcc, 1
	.set _ZL10rope_multiILb1ELb0E6__halfEvPKT1_PS1_iiiiiiiiiiPKifff14rope_corr_dimsfPKf14mrope_sectionsb.uses_flat_scratch, 0
	.set _ZL10rope_multiILb1ELb0E6__halfEvPKT1_PS1_iiiiiiiiiiPKifff14rope_corr_dimsfPKf14mrope_sectionsb.has_dyn_sized_stack, 0
	.set _ZL10rope_multiILb1ELb0E6__halfEvPKT1_PS1_iiiiiiiiiiPKifff14rope_corr_dimsfPKf14mrope_sectionsb.has_recursion, 0
	.set _ZL10rope_multiILb1ELb0E6__halfEvPKT1_PS1_iiiiiiiiiiPKifff14rope_corr_dimsfPKf14mrope_sectionsb.has_indirect_call, 0
	.section	.AMDGPU.csdata,"",@progbits
; Kernel info:
; codeLenInByte = 10184
; TotalNumSgprs: 36
; NumVgprs: 20
; ScratchSize: 0
; MemoryBound: 0
; FloatMode: 240
; IeeeMode: 1
; LDSByteSize: 0 bytes/workgroup (compile time only)
; SGPRBlocks: 4
; VGPRBlocks: 4
; NumSGPRsForWavesPerEU: 36
; NumVGPRsForWavesPerEU: 20
; Occupancy: 10
; WaveLimiterHint : 0
; COMPUTE_PGM_RSRC2:SCRATCH_EN: 0
; COMPUTE_PGM_RSRC2:USER_SGPR: 6
; COMPUTE_PGM_RSRC2:TRAP_HANDLER: 0
; COMPUTE_PGM_RSRC2:TGID_X_EN: 1
; COMPUTE_PGM_RSRC2:TGID_Y_EN: 1
; COMPUTE_PGM_RSRC2:TGID_Z_EN: 0
; COMPUTE_PGM_RSRC2:TIDIG_COMP_CNT: 1
	.section	.text._ZL10rope_multiILb1ELb1E6__halfEvPKT1_PS1_iiiiiiiiiiPKifff14rope_corr_dimsfPKf14mrope_sectionsb,"axG",@progbits,_ZL10rope_multiILb1ELb1E6__halfEvPKT1_PS1_iiiiiiiiiiPKifff14rope_corr_dimsfPKf14mrope_sectionsb,comdat
	.globl	_ZL10rope_multiILb1ELb1E6__halfEvPKT1_PS1_iiiiiiiiiiPKifff14rope_corr_dimsfPKf14mrope_sectionsb ; -- Begin function _ZL10rope_multiILb1ELb1E6__halfEvPKT1_PS1_iiiiiiiiiiPKifff14rope_corr_dimsfPKf14mrope_sectionsb
	.p2align	8
	.type	_ZL10rope_multiILb1ELb1E6__halfEvPKT1_PS1_iiiiiiiiiiPKifff14rope_corr_dimsfPKf14mrope_sectionsb,@function
_ZL10rope_multiILb1ELb1E6__halfEvPKT1_PS1_iiiiiiiiiiPKifff14rope_corr_dimsfPKf14mrope_sectionsb: ; @_ZL10rope_multiILb1ELb1E6__halfEvPKT1_PS1_iiiiiiiiiiPKifff14rope_corr_dimsfPKf14mrope_sectionsb
; %bb.0:
	s_load_dword s2, s[4:5], 0x84
	s_load_dwordx8 s[8:15], s[4:5], 0x10
	s_add_u32 s0, s4, 0x78
	s_addc_u32 s1, s5, 0
	s_waitcnt lgkmcnt(0)
	s_lshr_b32 s2, s2, 16
	s_mul_i32 s7, s7, s2
	v_add_lshl_u32 v6, s7, v1, 1
	v_cmp_gt_i32_e32 vcc, s8, v6
	s_and_saveexec_b64 s[2:3], vcc
	s_cbranch_execz .LBB9_44
; %bb.1:
	s_mul_i32 s2, s10, s9
	s_abs_i32 s3, s2
	v_cvt_f32_u32_e32 v1, s3
	s_load_dword s0, s[0:1], 0xc
	s_sub_i32 s1, 0, s3
	v_cvt_f32_u32_e32 v2, s9
	v_rcp_iflag_f32_e32 v1, v1
	s_load_dwordx2 s[24:25], s[4:5], 0x30
	s_load_dwordx4 s[16:19], s[4:5], 0x0
	s_waitcnt lgkmcnt(0)
	s_and_b32 s0, s0, 0xffff
	s_mul_i32 s6, s6, s0
	v_mul_f32_e32 v1, 0x4f7ffffe, v1
	v_cvt_u32_f32_e32 v1, v1
	v_add_u32_e32 v0, s6, v0
	v_sub_u32_e32 v4, 0, v0
	v_max_i32_e32 v4, v0, v4
	v_mul_lo_u32 v3, s1, v1
	v_rcp_iflag_f32_e32 v2, v2
	s_sub_i32 s0, 0, s9
	v_xor_b32_e32 v5, s2, v0
	v_mul_hi_u32 v3, v1, v3
	v_mul_f32_e32 v2, 0x4f7ffffe, v2
	v_cvt_u32_f32_e32 v2, v2
	v_ashrrev_i32_e32 v5, 31, v5
	v_add_u32_e32 v1, v1, v3
	v_mul_hi_u32 v1, v4, v1
	v_mul_lo_u32 v3, s0, v2
	v_mul_lo_u32 v7, v1, s3
	v_add_u32_e32 v8, 1, v1
	v_mul_hi_u32 v3, v2, v3
	v_sub_u32_e32 v4, v4, v7
	v_cmp_le_u32_e32 vcc, s3, v4
	v_subrev_u32_e32 v7, s3, v4
	v_cndmask_b32_e32 v1, v1, v8, vcc
	v_cndmask_b32_e32 v4, v4, v7, vcc
	v_add_u32_e32 v7, 1, v1
	v_cmp_le_u32_e32 vcc, s3, v4
	v_cndmask_b32_e32 v1, v1, v7, vcc
	v_xor_b32_e32 v1, v1, v5
	v_sub_u32_e32 v5, v1, v5
	v_mul_lo_u32 v1, s2, v5
	v_add_u32_e32 v2, v2, v3
	v_sub_u32_e32 v3, v0, v1
	v_mul_hi_u32 v0, v3, v2
	v_ashrrev_i32_e32 v2, 1, v6
	v_mul_lo_u32 v1, v0, s9
	v_add_u32_e32 v4, 1, v0
	v_sub_u32_e32 v1, v3, v1
	v_cmp_le_u32_e32 vcc, s9, v1
	v_cndmask_b32_e32 v0, v0, v4, vcc
	v_subrev_u32_e32 v4, s9, v1
	v_cndmask_b32_e32 v1, v1, v4, vcc
	v_add_u32_e32 v4, 1, v0
	v_cmp_le_u32_e32 vcc, s9, v1
	v_cndmask_b32_e32 v4, v0, v4, vcc
	v_mul_lo_u32 v7, v4, s9
	v_mad_u64_u32 v[0:1], s[0:1], v5, s24, v[2:3]
	v_mul_lo_u32 v1, v4, s15
	v_sub_u32_e32 v3, v3, v7
	v_mul_lo_u32 v9, v3, s14
	v_mul_lo_u32 v3, v3, s11
	;; [unrolled: 1-line block ×3, first 2 shown]
	v_cmp_le_i32_e32 vcc, s25, v6
	v_add3_u32 v0, v0, v1, v9
	v_mad_u64_u32 v[7:8], s[0:1], v5, s13, v[2:3]
	v_add3_u32 v1, v7, v10, v3
	s_and_saveexec_b64 s[0:1], vcc
	s_xor_b64 s[0:1], exec, s[0:1]
	s_cbranch_execz .LBB9_3
; %bb.2:
	v_add_u32_e32 v3, v1, v2
	v_ashrrev_i32_e32 v4, 31, v3
	v_lshlrev_b64 v[3:4], 1, v[3:4]
	v_mov_b32_e32 v1, s17
	v_add_co_u32_e32 v3, vcc, s16, v3
	v_addc_co_u32_e32 v4, vcc, v1, v4, vcc
	global_load_ushort v5, v[3:4], off
	v_add_u32_e32 v0, v0, v2
	v_ashrrev_i32_e32 v1, 31, v0
	v_lshlrev_b64 v[0:1], 1, v[0:1]
	v_mov_b32_e32 v2, s19
	v_add_co_u32_e32 v0, vcc, s18, v0
	v_addc_co_u32_e32 v1, vcc, v2, v1, vcc
                                        ; implicit-def: $vgpr6
	s_waitcnt vmcnt(0)
	global_store_short v[0:1], v5, off
	global_load_ushort v2, v[3:4], off offset:2
                                        ; implicit-def: $vgpr4
	s_waitcnt vmcnt(0)
	global_store_short v[0:1], v2, off offset:2
                                        ; implicit-def: $vgpr1
                                        ; implicit-def: $vgpr0
                                        ; implicit-def: $vgpr2
.LBB9_3:
	s_andn2_saveexec_b64 s[0:1], s[0:1]
	s_cbranch_execz .LBB9_44
; %bb.4:
	s_load_dwordx4 s[20:23], s[4:5], 0x60
	s_load_dwordx2 s[8:9], s[4:5], 0x50
	v_sub_u32_e32 v7, 0, v2
	v_max_i32_e32 v7, v2, v7
	s_waitcnt lgkmcnt(0)
	s_add_i32 s1, s21, s20
	s_add_i32 s0, s1, s22
	;; [unrolled: 1-line block ×3, first 2 shown]
	s_abs_i32 s2, s2
	v_cvt_f32_u32_e32 v3, s2
	s_sub_i32 s3, 0, s2
	v_rcp_iflag_f32_e32 v3, v3
	v_mul_f32_e32 v3, 0x4f7ffffe, v3
	v_cvt_u32_f32_e32 v3, v3
	v_mul_lo_u32 v5, s3, v3
	s_load_dword s3, s[4:5], 0x70
	s_load_dwordx2 s[26:27], s[4:5], 0x38
	s_load_dwordx4 s[12:15], s[4:5], 0x40
	s_waitcnt lgkmcnt(0)
	s_and_b32 s3, s3, 1
	v_mul_hi_u32 v5, v3, v5
	s_cmp_eq_u32 s3, 0
	v_add_u32_e32 v3, v3, v5
	v_mul_hi_u32 v3, v7, v3
	v_mul_lo_u32 v5, v3, s2
	v_ashrrev_i32_e32 v3, 31, v2
	v_sub_u32_e32 v5, v7, v5
	v_subrev_u32_e32 v7, s2, v5
	v_cmp_le_u32_e32 vcc, s2, v5
	v_cndmask_b32_e32 v5, v5, v7, vcc
	v_subrev_u32_e32 v7, s2, v5
	v_cmp_le_u32_e32 vcc, s2, v5
	v_cndmask_b32_e32 v5, v5, v7, vcc
	v_xor_b32_e32 v5, v5, v3
	v_sub_u32_e32 v7, v5, v3
	s_cbranch_scc0 .LBB9_18
; %bb.5:
	v_cmp_le_i32_e32 vcc, s20, v7
                                        ; implicit-def: $vgpr5
	s_and_saveexec_b64 s[2:3], vcc
	s_xor_b64 s[28:29], exec, s[2:3]
	s_cbranch_execz .LBB9_15
; %bb.6:
	v_cmp_le_i32_e32 vcc, s1, v7
                                        ; implicit-def: $vgpr5
	s_and_saveexec_b64 s[2:3], vcc
	s_xor_b64 s[30:31], exec, s[2:3]
	s_cbranch_execz .LBB9_12
; %bb.7:
	v_cvt_f32_i32_e32 v5, v6
	v_cmp_le_i32_e32 vcc, s0, v7
	v_cmp_neq_f32_e64 s[0:1], s9, 1.0
	v_mov_b32_e32 v9, s9
	v_mul_f32_e32 v5, 0.5, v5
	v_cndmask_b32_e64 v8, 1.0, v5, s[0:1]
	v_cmp_neq_f32_e64 s[0:1], 0, v8
	v_cndmask_b32_e64 v5, 1.0, v9, s[0:1]
	v_frexp_mant_f32_e64 v9, |v5|
	s_mov_b32 s0, 0x3f2aaaab
	v_cmp_gt_f32_e64 s[0:1], s0, v9
	v_cndmask_b32_e64 v10, 1.0, 2.0, s[0:1]
	v_mul_f32_e32 v9, v9, v10
	v_add_f32_e32 v10, 1.0, v9
	v_rcp_f32_e32 v11, v10
	v_add_f32_e32 v12, -1.0, v9
	v_add_f32_e32 v13, -1.0, v10
	v_sub_f32_e32 v9, v9, v13
	v_mul_f32_e32 v13, v12, v11
	v_mul_f32_e32 v14, v10, v13
	v_fma_f32 v10, v13, v10, -v14
	v_fmac_f32_e32 v10, v13, v9
	v_add_f32_e32 v9, v14, v10
	v_sub_f32_e32 v15, v12, v9
	v_sub_f32_e32 v14, v9, v14
	;; [unrolled: 1-line block ×5, first 2 shown]
	v_add_f32_e32 v9, v10, v9
	v_add_f32_e32 v9, v15, v9
	v_mul_f32_e32 v9, v11, v9
	v_add_f32_e32 v11, v13, v9
	v_sub_f32_e32 v10, v11, v13
	v_sub_f32_e32 v12, v9, v10
	v_mul_f32_e32 v9, v11, v11
	v_fma_f32 v10, v11, v11, -v9
	v_add_f32_e32 v13, v12, v12
	v_fmac_f32_e32 v10, v11, v13
	v_add_f32_e32 v13, v9, v10
	v_mov_b32_e32 v14, 0x3e91f4c4
	v_sub_f32_e32 v9, v13, v9
	v_fmac_f32_e32 v14, 0x3e76c4e1, v13
	v_mov_b32_e32 v15, 0x3ecccdef
	v_sub_f32_e32 v9, v10, v9
	v_mul_f32_e32 v10, v11, v13
	v_fmac_f32_e32 v15, v13, v14
	v_fma_f32 v14, v13, v11, -v10
	v_fmac_f32_e32 v14, v13, v12
	v_fmac_f32_e32 v14, v9, v11
	v_add_f32_e32 v16, v10, v14
	v_sub_f32_e32 v10, v16, v10
	v_sub_f32_e32 v14, v14, v10
	v_mul_f32_e32 v10, v13, v15
	v_fma_f32 v13, v13, v15, -v10
	v_fmac_f32_e32 v13, v9, v15
	v_add_f32_e32 v15, v10, v13
	v_sub_f32_e32 v9, v15, v10
	v_sub_f32_e32 v13, v13, v9
	v_cvt_f64_f32_e64 v[9:10], |v5|
	v_add_f32_e32 v17, 0x3f2aaaaa, v15
	v_add_f32_e32 v18, 0xbf2aaaaa, v17
	v_add_f32_e32 v13, 0x31739010, v13
	v_frexp_exp_i32_f64_e32 v9, v[9:10]
	v_sub_f32_e32 v15, v15, v18
	v_add_f32_e32 v10, v13, v15
	v_add_f32_e32 v13, v17, v10
	v_sub_f32_e32 v15, v17, v13
	v_add_f32_e32 v10, v10, v15
	v_mul_f32_e32 v15, v16, v13
	v_fma_f32 v17, v16, v13, -v15
	v_subbrev_co_u32_e64 v9, s[0:1], 0, v9, s[0:1]
	v_cvt_f32_i32_e32 v9, v9
	v_fmac_f32_e32 v17, v16, v10
	s_mov_b32 s0, 0x3f317218
	v_fmac_f32_e32 v17, v14, v13
	v_mul_f32_e32 v10, 0x3f317218, v9
	v_fma_f32 v13, v9, s0, -v10
	v_fmac_f32_e32 v13, 0xb102e308, v9
	v_ldexp_f32 v9, v12, 1
	v_add_f32_e32 v12, v10, v13
	v_sub_f32_e32 v10, v12, v10
	v_ldexp_f32 v11, v11, 1
	v_sub_f32_e32 v10, v13, v10
	v_add_f32_e32 v13, v15, v17
	v_sub_f32_e32 v14, v13, v15
	v_add_f32_e32 v15, v11, v13
	v_sub_f32_e32 v14, v17, v14
	v_sub_f32_e32 v11, v15, v11
	;; [unrolled: 1-line block ×3, first 2 shown]
	v_add_f32_e32 v9, v9, v14
	v_add_f32_e32 v9, v9, v11
	v_add_f32_e32 v11, v15, v9
	v_sub_f32_e32 v13, v11, v15
	v_sub_f32_e32 v9, v9, v13
	v_add_f32_e32 v13, v12, v11
	v_sub_f32_e32 v14, v13, v12
	v_sub_f32_e32 v15, v13, v14
	;; [unrolled: 1-line block ×4, first 2 shown]
	v_add_f32_e32 v11, v11, v12
	v_add_f32_e32 v12, v10, v9
	v_sub_f32_e32 v14, v12, v10
	v_sub_f32_e32 v15, v12, v14
	;; [unrolled: 1-line block ×4, first 2 shown]
	v_add_f32_e32 v9, v9, v10
	v_add_f32_e32 v10, v12, v11
	;; [unrolled: 1-line block ×3, first 2 shown]
	v_sub_f32_e32 v12, v11, v13
	v_sub_f32_e32 v10, v10, v12
	v_add_f32_e32 v9, v9, v10
	v_add_f32_e32 v10, v11, v9
	v_sub_f32_e32 v11, v10, v11
	v_sub_f32_e32 v9, v9, v11
	v_mul_f32_e32 v11, v8, v10
	v_fma_f32 v10, v8, v10, -v11
	v_fmac_f32_e32 v10, v8, v9
	s_movk_i32 s11, 0x204
	v_add_f32_e32 v9, v11, v10
	v_cmp_class_f32_e64 s[0:1], v11, s11
	v_sub_f32_e32 v12, v9, v11
	v_cndmask_b32_e64 v9, v9, v11, s[0:1]
	s_mov_b32 s3, 0x42b17218
	v_mov_b32_e32 v11, 0x37000000
	v_cmp_eq_f32_e64 s[0:1], s3, v9
	v_cndmask_b32_e64 v11, 0, v11, s[0:1]
	v_sub_f32_e32 v10, v10, v12
	v_sub_f32_e32 v12, v9, v11
	s_mov_b32 s0, 0x3fb8aa3b
	v_mul_f32_e32 v13, 0x3fb8aa3b, v12
	v_fma_f32 v14, v12, s0, -v13
	v_rndne_f32_e32 v15, v13
	v_fmac_f32_e32 v14, 0x32a5705f, v12
	v_sub_f32_e32 v13, v13, v15
	v_add_f32_e32 v13, v13, v14
	v_exp_f32_e32 v13, v13
	v_cvt_i32_f32_e32 v14, v15
	s_mov_b32 s2, 0x7f800000
	v_cmp_neq_f32_e64 s[0:1], |v9|, s2
	v_cndmask_b32_e64 v9, 0, v10, s[0:1]
	s_mov_b32 s0, 0xc2ce8ed0
	v_ldexp_f32 v10, v13, v14
	v_cmp_ngt_f32_e64 s[0:1], s0, v12
	v_add_f32_e32 v9, v11, v9
	v_cndmask_b32_e64 v10, 0, v10, s[0:1]
	v_mov_b32_e32 v11, 0x7f800000
	v_cmp_nlt_f32_e64 s[0:1], s3, v12
	v_cndmask_b32_e64 v10, v11, v10, s[0:1]
	v_fma_f32 v9, v10, v9, v10
	v_cmp_class_f32_e64 s[0:1], v10, s11
	v_cndmask_b32_e64 v9, v9, v10, s[0:1]
	v_trunc_f32_e32 v10, v8
	v_cmp_eq_f32_e64 s[0:1], v10, v8
	v_mul_f32_e32 v10, 0.5, v8
	v_trunc_f32_e32 v13, v10
	v_cmp_neq_f32_e64 s[2:3], v13, v10
	s_and_b64 s[2:3], s[0:1], s[2:3]
	v_cndmask_b32_e64 v10, 1.0, v5, s[2:3]
	s_brev_b32 s23, -2
	v_mov_b32_e32 v12, 0x7fc00000
	v_bfi_b32 v9, s23, v9, v10
	v_cndmask_b32_e64 v10, v12, v9, s[0:1]
	v_cmp_gt_f32_e64 s[0:1], 0, v5
	v_cndmask_b32_e64 v9, v9, v10, s[0:1]
	v_cmp_neq_f32_e64 s[0:1], v8, |v8|
	v_cmp_lt_f32_e64 s[6:7], |v5|, 1.0
	s_xor_b64 s[0:1], s[0:1], s[6:7]
	v_cndmask_b32_e64 v10, v11, 0, s[0:1]
	v_cmp_neq_f32_e64 s[0:1], |v5|, 1.0
	v_cndmask_b32_e64 v10, 1.0, v10, s[0:1]
	v_cmp_class_f32_e64 s[0:1], v8, s11
	v_cndmask_b32_e64 v9, v9, v10, s[0:1]
	v_cmp_eq_f32_e64 s[0:1], 0, v5
	v_cmp_gt_f32_e64 s[6:7], 0, v8
	s_xor_b64 s[6:7], s[6:7], s[0:1]
	v_cmp_class_f32_e64 s[34:35], v5, s11
	v_cndmask_b32_e64 v8, v11, 0, s[6:7]
	v_cndmask_b32_e64 v10, 0, v5, s[2:3]
	v_bfi_b32 v8, s23, v8, v10
	s_or_b64 s[0:1], s[0:1], s[34:35]
	v_cndmask_b32_e64 v8, v9, v8, s[0:1]
	v_cmp_o_f32_e64 s[0:1], v5, v5
	v_cndmask_b32_e64 v8, v12, v8, s[0:1]
                                        ; implicit-def: $vgpr5
	s_and_saveexec_b64 s[0:1], vcc
	s_xor_b64 s[0:1], exec, s[0:1]
	s_cbranch_execz .LBB9_9
; %bb.8:
	v_mad_u64_u32 v[9:10], s[2:3], s10, 3, v[4:5]
	v_mov_b32_e32 v10, 0
	v_mov_b32_e32 v5, s27
	v_lshlrev_b64 v[9:10], 2, v[9:10]
	v_add_co_u32_e32 v9, vcc, s26, v9
	v_addc_co_u32_e32 v10, vcc, v5, v10, vcc
	global_load_dword v5, v[9:10], off
	s_waitcnt vmcnt(0)
	v_cvt_f32_i32_e32 v5, v5
	v_mul_f32_e32 v5, v8, v5
                                        ; implicit-def: $vgpr8
.LBB9_9:
	s_andn2_saveexec_b64 s[0:1], s[0:1]
	s_cbranch_execz .LBB9_11
; %bb.10:
	v_lshl_add_u32 v9, s10, 1, v4
	v_mov_b32_e32 v10, 0
	v_lshlrev_b64 v[9:10], 2, v[9:10]
	v_mov_b32_e32 v5, s27
	v_add_co_u32_e32 v9, vcc, s26, v9
	v_addc_co_u32_e32 v10, vcc, v5, v10, vcc
	global_load_dword v5, v[9:10], off
	s_waitcnt vmcnt(0)
	v_cvt_f32_i32_e32 v5, v5
	v_mul_f32_e32 v5, v8, v5
.LBB9_11:
	s_or_b64 exec, exec, s[0:1]
.LBB9_12:
	s_andn2_saveexec_b64 s[6:7], s[30:31]
	s_cbranch_execz .LBB9_14
; %bb.13:
	v_add_u32_e32 v8, s10, v4
	v_mov_b32_e32 v9, 0
	v_lshlrev_b64 v[8:9], 2, v[8:9]
	v_mov_b32_e32 v5, s27
	v_add_co_u32_e32 v8, vcc, s26, v8
	v_addc_co_u32_e32 v9, vcc, v5, v9, vcc
	v_cvt_f32_i32_e32 v5, v6
	v_cmp_neq_f32_e64 vcc, s9, 1.0
	global_load_dword v9, v[8:9], off
	v_mov_b32_e32 v10, s9
	v_mul_f32_e32 v5, 0.5, v5
	v_cndmask_b32_e32 v8, 1.0, v5, vcc
	v_cmp_neq_f32_e32 vcc, 0, v8
	v_cndmask_b32_e32 v5, 1.0, v10, vcc
	s_mov_b32 s0, 0x3f2aaaab
	v_frexp_mant_f32_e64 v14, |v5|
	v_cmp_gt_f32_e32 vcc, s0, v14
	v_cndmask_b32_e64 v15, 1.0, 2.0, vcc
	v_mul_f32_e32 v14, v14, v15
	v_add_f32_e32 v16, 1.0, v14
	v_cvt_f64_f32_e64 v[10:11], |v5|
	v_rcp_f32_e32 v17, v16
	v_add_f32_e32 v15, -1.0, v14
	v_add_f32_e32 v18, -1.0, v16
	v_frexp_exp_i32_f64_e32 v10, v[10:11]
	v_sub_f32_e32 v11, v14, v18
	v_mul_f32_e32 v14, v15, v17
	v_mul_f32_e32 v18, v16, v14
	v_fma_f32 v16, v14, v16, -v18
	v_fmac_f32_e32 v16, v14, v11
	v_add_f32_e32 v11, v18, v16
	v_sub_f32_e32 v19, v15, v11
	v_sub_f32_e32 v18, v11, v18
	;; [unrolled: 1-line block ×5, first 2 shown]
	v_add_f32_e32 v11, v16, v11
	v_add_f32_e32 v11, v19, v11
	v_mul_f32_e32 v11, v17, v11
	v_add_f32_e32 v15, v14, v11
	v_sub_f32_e32 v14, v15, v14
	v_mul_f32_e32 v16, v15, v15
	v_sub_f32_e32 v11, v11, v14
	v_fma_f32 v14, v15, v15, -v16
	v_add_f32_e32 v17, v11, v11
	v_fmac_f32_e32 v14, v15, v17
	v_mov_b32_e32 v12, 0x3e91f4c4
	v_add_f32_e32 v17, v16, v14
	v_mov_b32_e32 v13, 0x3ecccdef
	v_fmac_f32_e32 v12, 0x3e76c4e1, v17
	v_sub_f32_e32 v16, v17, v16
	v_mul_f32_e32 v18, v15, v17
	v_fmac_f32_e32 v13, v17, v12
	v_sub_f32_e32 v12, v14, v16
	v_fma_f32 v14, v17, v15, -v18
	v_fmac_f32_e32 v14, v17, v11
	v_mul_f32_e32 v16, v17, v13
	v_fmac_f32_e32 v14, v12, v15
	v_fma_f32 v17, v17, v13, -v16
	v_add_f32_e32 v19, v18, v14
	v_fmac_f32_e32 v17, v12, v13
	v_sub_f32_e32 v12, v19, v18
	v_add_f32_e32 v13, v16, v17
	v_sub_f32_e32 v12, v14, v12
	v_add_f32_e32 v14, 0x3f2aaaaa, v13
	v_sub_f32_e32 v16, v13, v16
	v_sub_f32_e32 v16, v17, v16
	v_add_f32_e32 v17, 0xbf2aaaaa, v14
	v_add_f32_e32 v16, 0x31739010, v16
	v_sub_f32_e32 v13, v13, v17
	v_subbrev_co_u32_e32 v10, vcc, 0, v10, vcc
	v_add_f32_e32 v13, v16, v13
	v_cvt_f32_i32_e32 v10, v10
	v_add_f32_e32 v16, v14, v13
	v_sub_f32_e32 v14, v14, v16
	v_mul_f32_e32 v17, v19, v16
	v_add_f32_e32 v13, v13, v14
	v_fma_f32 v14, v19, v16, -v17
	v_fmac_f32_e32 v14, v19, v13
	s_mov_b32 s1, 0x3f317218
	v_fmac_f32_e32 v14, v12, v16
	v_mul_f32_e32 v12, 0x3f317218, v10
	v_fma_f32 v13, v10, s1, -v12
	v_fmac_f32_e32 v13, 0xb102e308, v10
	v_ldexp_f32 v10, v11, 1
	v_ldexp_f32 v11, v15, 1
	v_add_f32_e32 v15, v12, v13
	v_sub_f32_e32 v12, v15, v12
	v_sub_f32_e32 v12, v13, v12
	v_add_f32_e32 v13, v17, v14
	v_sub_f32_e32 v16, v13, v17
	v_sub_f32_e32 v14, v14, v16
	v_add_f32_e32 v16, v11, v13
	v_sub_f32_e32 v11, v16, v11
	v_sub_f32_e32 v11, v13, v11
	v_add_f32_e32 v10, v10, v14
	v_add_f32_e32 v10, v10, v11
	;; [unrolled: 1-line block ×3, first 2 shown]
	v_sub_f32_e32 v13, v11, v16
	v_sub_f32_e32 v10, v10, v13
	v_add_f32_e32 v13, v15, v11
	v_sub_f32_e32 v14, v13, v15
	v_sub_f32_e32 v16, v13, v14
	;; [unrolled: 1-line block ×4, first 2 shown]
	v_add_f32_e32 v14, v12, v10
	v_add_f32_e32 v11, v11, v15
	v_sub_f32_e32 v15, v14, v12
	v_sub_f32_e32 v16, v14, v15
	;; [unrolled: 1-line block ×4, first 2 shown]
	v_add_f32_e32 v11, v14, v11
	v_add_f32_e32 v10, v10, v12
	;; [unrolled: 1-line block ×3, first 2 shown]
	v_sub_f32_e32 v13, v12, v13
	v_sub_f32_e32 v11, v11, v13
	v_add_f32_e32 v10, v10, v11
	v_add_f32_e32 v11, v12, v10
	v_sub_f32_e32 v12, v11, v12
	v_sub_f32_e32 v10, v10, v12
	v_mul_f32_e32 v12, v8, v11
	v_fma_f32 v11, v8, v11, -v12
	v_fmac_f32_e32 v11, v8, v10
	s_movk_i32 s11, 0x204
	v_add_f32_e32 v10, v12, v11
	v_cmp_class_f32_e64 vcc, v12, s11
	v_sub_f32_e32 v13, v10, v12
	v_cndmask_b32_e32 v10, v10, v12, vcc
	s_mov_b32 s1, 0x42b17218
	v_mov_b32_e32 v12, 0x37000000
	v_cmp_eq_f32_e32 vcc, s1, v10
	v_cndmask_b32_e32 v12, 0, v12, vcc
	v_sub_f32_e32 v11, v11, v13
	v_sub_f32_e32 v13, v10, v12
	s_mov_b32 s2, 0x3fb8aa3b
	v_mul_f32_e32 v14, 0x3fb8aa3b, v13
	v_fma_f32 v15, v13, s2, -v14
	v_rndne_f32_e32 v16, v14
	v_fmac_f32_e32 v15, 0x32a5705f, v13
	v_sub_f32_e32 v14, v14, v16
	v_add_f32_e32 v14, v14, v15
	v_exp_f32_e32 v14, v14
	v_cvt_i32_f32_e32 v15, v16
	s_mov_b32 s0, 0x7f800000
	v_cmp_neq_f32_e64 vcc, |v10|, s0
	s_mov_b32 s0, 0xc2ce8ed0
	v_cndmask_b32_e32 v10, 0, v11, vcc
	v_ldexp_f32 v11, v14, v15
	v_cmp_ngt_f32_e32 vcc, s0, v13
	v_add_f32_e32 v10, v12, v10
	v_cndmask_b32_e32 v11, 0, v11, vcc
	v_mov_b32_e32 v12, 0x7f800000
	v_cmp_nlt_f32_e32 vcc, s1, v13
	v_cndmask_b32_e32 v11, v12, v11, vcc
	v_fma_f32 v10, v11, v10, v11
	v_cmp_class_f32_e64 vcc, v11, s11
	v_cndmask_b32_e32 v10, v10, v11, vcc
	v_trunc_f32_e32 v11, v8
	v_cmp_eq_f32_e32 vcc, v11, v8
	v_mul_f32_e32 v11, 0.5, v8
	v_trunc_f32_e32 v14, v11
	v_cmp_neq_f32_e64 s[0:1], v14, v11
	s_and_b64 s[0:1], vcc, s[0:1]
	v_cndmask_b32_e64 v11, 1.0, v5, s[0:1]
	s_brev_b32 s23, -2
	v_mov_b32_e32 v13, 0x7fc00000
	v_bfi_b32 v10, s23, v10, v11
	v_cmp_neq_f32_e64 s[2:3], v8, |v8|
	v_cmp_lt_f32_e64 s[30:31], |v5|, 1.0
	v_cndmask_b32_e32 v11, v13, v10, vcc
	v_cmp_gt_f32_e32 vcc, 0, v5
	s_xor_b64 s[2:3], s[2:3], s[30:31]
	v_cndmask_b32_e32 v10, v10, v11, vcc
	v_cndmask_b32_e64 v11, v12, 0, s[2:3]
	v_cmp_neq_f32_e64 vcc, |v5|, 1.0
	v_cndmask_b32_e32 v11, 1.0, v11, vcc
	v_cmp_class_f32_e64 vcc, v8, s11
	v_cndmask_b32_e32 v10, v10, v11, vcc
	v_cmp_eq_f32_e32 vcc, 0, v5
	v_cmp_gt_f32_e64 s[2:3], 0, v8
	s_xor_b64 s[2:3], s[2:3], vcc
	s_waitcnt vmcnt(0)
	v_cvt_f32_i32_e32 v9, v9
	v_cmp_class_f32_e64 s[30:31], v5, s11
	v_cndmask_b32_e64 v8, v12, 0, s[2:3]
	v_cndmask_b32_e64 v11, 0, v5, s[0:1]
	v_bfi_b32 v8, s23, v8, v11
	s_or_b64 vcc, vcc, s[30:31]
	v_cndmask_b32_e32 v8, v10, v8, vcc
	v_cmp_o_f32_e32 vcc, v5, v5
	v_cndmask_b32_e32 v5, v13, v8, vcc
	v_mul_f32_e32 v5, v5, v9
.LBB9_14:
	s_or_b64 exec, exec, s[6:7]
.LBB9_15:
	s_andn2_saveexec_b64 s[6:7], s[28:29]
	s_cbranch_execz .LBB9_17
; %bb.16:
	v_mov_b32_e32 v5, 0
	v_lshlrev_b64 v[8:9], 2, v[4:5]
	v_mov_b32_e32 v5, s27
	v_add_co_u32_e32 v8, vcc, s26, v8
	v_addc_co_u32_e32 v9, vcc, v5, v9, vcc
	v_cvt_f32_i32_e32 v5, v6
	v_cmp_neq_f32_e64 vcc, s9, 1.0
	global_load_dword v9, v[8:9], off
	v_mov_b32_e32 v10, s9
	v_mul_f32_e32 v5, 0.5, v5
	v_cndmask_b32_e32 v8, 1.0, v5, vcc
	v_cmp_neq_f32_e32 vcc, 0, v8
	v_cndmask_b32_e32 v5, 1.0, v10, vcc
	s_mov_b32 s0, 0x3f2aaaab
	v_frexp_mant_f32_e64 v14, |v5|
	v_cmp_gt_f32_e32 vcc, s0, v14
	v_cndmask_b32_e64 v15, 1.0, 2.0, vcc
	v_mul_f32_e32 v14, v14, v15
	v_add_f32_e32 v16, 1.0, v14
	v_cvt_f64_f32_e64 v[10:11], |v5|
	v_rcp_f32_e32 v17, v16
	v_add_f32_e32 v15, -1.0, v14
	v_add_f32_e32 v18, -1.0, v16
	v_frexp_exp_i32_f64_e32 v10, v[10:11]
	v_sub_f32_e32 v11, v14, v18
	v_mul_f32_e32 v14, v15, v17
	v_mul_f32_e32 v18, v16, v14
	v_fma_f32 v16, v14, v16, -v18
	v_fmac_f32_e32 v16, v14, v11
	v_add_f32_e32 v11, v18, v16
	v_sub_f32_e32 v19, v15, v11
	v_sub_f32_e32 v18, v11, v18
	;; [unrolled: 1-line block ×5, first 2 shown]
	v_add_f32_e32 v11, v16, v11
	v_add_f32_e32 v11, v19, v11
	v_mul_f32_e32 v11, v17, v11
	v_add_f32_e32 v16, v14, v11
	v_sub_f32_e32 v14, v16, v14
	v_mul_f32_e32 v17, v16, v16
	v_sub_f32_e32 v11, v11, v14
	v_fma_f32 v14, v16, v16, -v17
	v_add_f32_e32 v18, v11, v11
	v_fmac_f32_e32 v14, v16, v18
	v_mov_b32_e32 v12, 0x3e91f4c4
	v_add_f32_e32 v18, v17, v14
	v_mov_b32_e32 v13, 0x3ecccdef
	v_fmac_f32_e32 v12, 0x3e76c4e1, v18
	v_sub_f32_e32 v17, v18, v17
	v_mul_f32_e32 v19, v16, v18
	v_fmac_f32_e32 v13, v18, v12
	v_sub_f32_e32 v12, v14, v17
	v_fma_f32 v14, v18, v16, -v19
	v_fmac_f32_e32 v14, v18, v11
	v_mul_f32_e32 v17, v18, v13
	v_fmac_f32_e32 v14, v12, v16
	v_fma_f32 v18, v18, v13, -v17
	v_add_f32_e32 v20, v19, v14
	v_fmac_f32_e32 v18, v12, v13
	v_sub_f32_e32 v12, v20, v19
	v_add_f32_e32 v13, v17, v18
	v_sub_f32_e32 v12, v14, v12
	v_add_f32_e32 v14, 0x3f2aaaaa, v13
	v_sub_f32_e32 v17, v13, v17
	v_sub_f32_e32 v17, v18, v17
	v_add_f32_e32 v18, 0xbf2aaaaa, v14
	v_subbrev_co_u32_e32 v10, vcc, 0, v10, vcc
	v_add_f32_e32 v17, 0x31739010, v17
	v_sub_f32_e32 v13, v13, v18
	v_cvt_f32_i32_e32 v10, v10
	v_add_f32_e32 v13, v17, v13
	v_add_f32_e32 v17, v14, v13
	v_sub_f32_e32 v14, v14, v17
	v_mul_f32_e32 v18, v20, v17
	v_add_f32_e32 v13, v13, v14
	v_fma_f32 v14, v20, v17, -v18
	s_mov_b32 s1, 0x3f317218
	v_mul_f32_e32 v15, 0x3f317218, v10
	v_fmac_f32_e32 v14, v20, v13
	v_fmac_f32_e32 v14, v12, v17
	v_fma_f32 v12, v10, s1, -v15
	v_fmac_f32_e32 v12, 0xb102e308, v10
	v_add_f32_e32 v13, v15, v12
	v_sub_f32_e32 v15, v13, v15
	v_sub_f32_e32 v12, v12, v15
	v_add_f32_e32 v15, v18, v14
	v_ldexp_f32 v10, v11, 1
	v_ldexp_f32 v11, v16, 1
	v_sub_f32_e32 v16, v15, v18
	v_sub_f32_e32 v14, v14, v16
	v_add_f32_e32 v16, v11, v15
	v_sub_f32_e32 v11, v16, v11
	v_sub_f32_e32 v11, v15, v11
	v_add_f32_e32 v10, v10, v14
	v_add_f32_e32 v10, v10, v11
	;; [unrolled: 1-line block ×3, first 2 shown]
	v_sub_f32_e32 v14, v11, v16
	v_sub_f32_e32 v10, v10, v14
	v_add_f32_e32 v14, v13, v11
	v_sub_f32_e32 v15, v14, v13
	v_sub_f32_e32 v16, v14, v15
	;; [unrolled: 1-line block ×4, first 2 shown]
	v_add_f32_e32 v11, v11, v13
	v_add_f32_e32 v13, v12, v10
	v_sub_f32_e32 v15, v13, v12
	v_sub_f32_e32 v16, v13, v15
	;; [unrolled: 1-line block ×4, first 2 shown]
	v_add_f32_e32 v11, v13, v11
	v_add_f32_e32 v10, v10, v12
	v_add_f32_e32 v12, v14, v11
	v_sub_f32_e32 v13, v12, v14
	v_sub_f32_e32 v11, v11, v13
	v_add_f32_e32 v10, v10, v11
	v_add_f32_e32 v11, v12, v10
	v_sub_f32_e32 v12, v11, v12
	v_sub_f32_e32 v10, v10, v12
	v_mul_f32_e32 v12, v8, v11
	v_fma_f32 v11, v8, v11, -v12
	v_fmac_f32_e32 v11, v8, v10
	s_movk_i32 s11, 0x204
	v_add_f32_e32 v10, v12, v11
	v_cmp_class_f32_e64 vcc, v12, s11
	v_sub_f32_e32 v13, v10, v12
	v_cndmask_b32_e32 v10, v10, v12, vcc
	s_mov_b32 s1, 0x42b17218
	v_mov_b32_e32 v12, 0x37000000
	v_cmp_eq_f32_e32 vcc, s1, v10
	v_cndmask_b32_e32 v12, 0, v12, vcc
	v_sub_f32_e32 v11, v11, v13
	v_sub_f32_e32 v13, v10, v12
	s_mov_b32 s2, 0x3fb8aa3b
	v_mul_f32_e32 v14, 0x3fb8aa3b, v13
	v_fma_f32 v15, v13, s2, -v14
	v_rndne_f32_e32 v16, v14
	v_fmac_f32_e32 v15, 0x32a5705f, v13
	v_sub_f32_e32 v14, v14, v16
	v_add_f32_e32 v14, v14, v15
	v_exp_f32_e32 v14, v14
	v_cvt_i32_f32_e32 v15, v16
	s_mov_b32 s0, 0x7f800000
	v_cmp_neq_f32_e64 vcc, |v10|, s0
	s_mov_b32 s0, 0xc2ce8ed0
	v_cndmask_b32_e32 v10, 0, v11, vcc
	v_ldexp_f32 v11, v14, v15
	v_cmp_ngt_f32_e32 vcc, s0, v13
	v_add_f32_e32 v10, v12, v10
	v_cndmask_b32_e32 v11, 0, v11, vcc
	v_mov_b32_e32 v12, 0x7f800000
	v_cmp_nlt_f32_e32 vcc, s1, v13
	v_cndmask_b32_e32 v11, v12, v11, vcc
	v_fma_f32 v10, v11, v10, v11
	v_cmp_class_f32_e64 vcc, v11, s11
	v_cndmask_b32_e32 v10, v10, v11, vcc
	v_trunc_f32_e32 v11, v8
	v_cmp_eq_f32_e32 vcc, v11, v8
	v_mul_f32_e32 v11, 0.5, v8
	v_trunc_f32_e32 v14, v11
	v_cmp_neq_f32_e64 s[0:1], v14, v11
	s_and_b64 s[0:1], vcc, s[0:1]
	v_cndmask_b32_e64 v11, 1.0, v5, s[0:1]
	s_brev_b32 s23, -2
	v_mov_b32_e32 v13, 0x7fc00000
	v_bfi_b32 v10, s23, v10, v11
	v_cmp_neq_f32_e64 s[2:3], v8, |v8|
	v_cmp_lt_f32_e64 s[28:29], |v5|, 1.0
	v_cndmask_b32_e32 v11, v13, v10, vcc
	v_cmp_gt_f32_e32 vcc, 0, v5
	s_xor_b64 s[2:3], s[2:3], s[28:29]
	v_cndmask_b32_e32 v10, v10, v11, vcc
	v_cndmask_b32_e64 v11, v12, 0, s[2:3]
	v_cmp_neq_f32_e64 vcc, |v5|, 1.0
	v_cndmask_b32_e32 v11, 1.0, v11, vcc
	v_cmp_class_f32_e64 vcc, v8, s11
	v_cndmask_b32_e32 v10, v10, v11, vcc
	v_cmp_eq_f32_e32 vcc, 0, v5
	v_cmp_gt_f32_e64 s[2:3], 0, v8
	s_xor_b64 s[2:3], s[2:3], vcc
	s_waitcnt vmcnt(0)
	v_cvt_f32_i32_e32 v9, v9
	v_cmp_class_f32_e64 s[28:29], v5, s11
	v_cndmask_b32_e64 v8, v12, 0, s[2:3]
	v_cndmask_b32_e64 v11, 0, v5, s[0:1]
	v_bfi_b32 v8, s23, v8, v11
	s_or_b64 vcc, vcc, s[28:29]
	v_cndmask_b32_e32 v8, v10, v8, vcc
	v_cmp_o_f32_e32 vcc, v5, v5
	v_cndmask_b32_e32 v5, v13, v8, vcc
	v_mul_f32_e32 v5, v5, v9
.LBB9_17:
	s_or_b64 exec, exec, s[6:7]
	s_cbranch_execz .LBB9_19
	s_branch .LBB9_32
.LBB9_18:
                                        ; implicit-def: $vgpr5
.LBB9_19:
	s_mov_b32 s0, 0x55555556
	v_mul_hi_i32 v5, v7, s0
	s_mul_i32 s0, s21, 3
	v_cmp_le_i32_e64 s[0:1], s0, v7
	v_lshrrev_b32_e32 v8, 31, v5
	v_add_u32_e32 v5, v5, v8
	v_lshl_add_u32 v5, v5, 1, v5
	v_sub_u32_e32 v8, v7, v5
	v_cmp_ne_u32_e32 vcc, 1, v8
	s_or_b64 s[0:1], vcc, s[0:1]
                                        ; implicit-def: $vgpr5
	s_and_saveexec_b64 s[2:3], s[0:1]
	s_xor_b64 s[6:7], exec, s[2:3]
	s_cbranch_execz .LBB9_29
; %bb.20:
	s_mul_i32 s0, s22, 3
	v_cmp_ne_u32_e32 vcc, 2, v8
	v_cmp_le_i32_e64 s[0:1], s0, v7
	s_or_b64 s[0:1], vcc, s[0:1]
                                        ; implicit-def: $vgpr5
	s_and_saveexec_b64 s[2:3], s[0:1]
	s_xor_b64 s[22:23], exec, s[2:3]
	s_cbranch_execz .LBB9_26
; %bb.21:
	s_mul_i32 s0, s20, 3
	v_cmp_ne_u32_e32 vcc, 0, v8
	v_cmp_le_i32_e64 s[0:1], s0, v7
	s_or_b64 s[0:1], vcc, s[0:1]
                                        ; implicit-def: $vgpr5
	s_and_saveexec_b64 s[2:3], s[0:1]
	s_xor_b64 s[20:21], exec, s[2:3]
	s_cbranch_execz .LBB9_23
; %bb.22:
	v_mad_u64_u32 v[4:5], s[0:1], s10, 3, v[4:5]
	v_mov_b32_e32 v5, 0
	v_mov_b32_e32 v7, s27
	v_lshlrev_b64 v[4:5], 2, v[4:5]
	s_mov_b32 s0, 0x3f2aaaab
	v_add_co_u32_e32 v4, vcc, s26, v4
	v_addc_co_u32_e32 v5, vcc, v7, v5, vcc
	global_load_dword v7, v[4:5], off
	v_cvt_f32_i32_e32 v4, v6
	v_cmp_neq_f32_e64 vcc, s9, 1.0
	v_mov_b32_e32 v6, s9
	v_mov_b32_e32 v10, 0x3e91f4c4
	v_mul_f32_e32 v4, 0.5, v4
	v_cndmask_b32_e32 v5, 1.0, v4, vcc
	v_cmp_neq_f32_e32 vcc, 0, v5
	v_cndmask_b32_e32 v4, 1.0, v6, vcc
	v_frexp_mant_f32_e64 v6, |v4|
	v_cmp_gt_f32_e32 vcc, s0, v6
	v_cndmask_b32_e64 v12, 1.0, 2.0, vcc
	v_mul_f32_e32 v6, v6, v12
	v_add_f32_e32 v13, 1.0, v6
	v_cvt_f64_f32_e64 v[8:9], |v4|
	v_rcp_f32_e32 v14, v13
	v_add_f32_e32 v12, -1.0, v6
	v_add_f32_e32 v15, -1.0, v13
	v_frexp_exp_i32_f64_e32 v8, v[8:9]
	v_mul_f32_e32 v9, v12, v14
	v_sub_f32_e32 v6, v6, v15
	v_mul_f32_e32 v15, v13, v9
	v_fma_f32 v13, v9, v13, -v15
	v_fmac_f32_e32 v13, v9, v6
	v_add_f32_e32 v6, v15, v13
	v_sub_f32_e32 v16, v12, v6
	v_sub_f32_e32 v15, v6, v15
	;; [unrolled: 1-line block ×5, first 2 shown]
	v_add_f32_e32 v6, v13, v6
	v_add_f32_e32 v6, v16, v6
	v_mul_f32_e32 v6, v14, v6
	v_add_f32_e32 v14, v9, v6
	v_sub_f32_e32 v9, v14, v9
	v_mul_f32_e32 v15, v14, v14
	v_sub_f32_e32 v6, v6, v9
	v_fma_f32 v9, v14, v14, -v15
	v_add_f32_e32 v16, v6, v6
	v_fmac_f32_e32 v9, v14, v16
	v_add_f32_e32 v16, v15, v9
	v_mov_b32_e32 v11, 0x3ecccdef
	v_fmac_f32_e32 v10, 0x3e76c4e1, v16
	v_mul_f32_e32 v17, v14, v16
	v_sub_f32_e32 v15, v16, v15
	v_fmac_f32_e32 v11, v16, v10
	v_fma_f32 v10, v16, v14, -v17
	v_sub_f32_e32 v9, v9, v15
	v_fmac_f32_e32 v10, v16, v6
	v_mul_f32_e32 v15, v16, v11
	v_fmac_f32_e32 v10, v9, v14
	v_fma_f32 v16, v16, v11, -v15
	v_add_f32_e32 v18, v17, v10
	v_fmac_f32_e32 v16, v9, v11
	v_sub_f32_e32 v9, v18, v17
	v_add_f32_e32 v11, v15, v16
	v_subbrev_co_u32_e32 v8, vcc, 0, v8, vcc
	v_sub_f32_e32 v9, v10, v9
	v_add_f32_e32 v10, 0x3f2aaaaa, v11
	v_sub_f32_e32 v15, v11, v15
	v_cvt_f32_i32_e32 v8, v8
	v_sub_f32_e32 v15, v16, v15
	v_add_f32_e32 v16, 0xbf2aaaaa, v10
	v_add_f32_e32 v15, 0x31739010, v15
	v_sub_f32_e32 v11, v11, v16
	v_add_f32_e32 v11, v15, v11
	v_add_f32_e32 v15, v10, v11
	s_mov_b32 s1, 0x3f317218
	v_mul_f32_e32 v12, 0x3f317218, v8
	v_sub_f32_e32 v10, v10, v15
	v_mul_f32_e32 v16, v18, v15
	v_fma_f32 v13, v8, s1, -v12
	v_add_f32_e32 v10, v11, v10
	v_fma_f32 v11, v18, v15, -v16
	v_fmac_f32_e32 v11, v18, v10
	v_fmac_f32_e32 v13, 0xb102e308, v8
	;; [unrolled: 1-line block ×3, first 2 shown]
	v_add_f32_e32 v9, v12, v13
	v_sub_f32_e32 v10, v9, v12
	v_add_f32_e32 v12, v16, v11
	v_ldexp_f32 v8, v14, 1
	v_sub_f32_e32 v10, v13, v10
	v_sub_f32_e32 v13, v12, v16
	;; [unrolled: 1-line block ×3, first 2 shown]
	v_add_f32_e32 v13, v8, v12
	v_ldexp_f32 v6, v6, 1
	v_sub_f32_e32 v8, v13, v8
	v_sub_f32_e32 v8, v12, v8
	v_add_f32_e32 v6, v6, v11
	v_add_f32_e32 v6, v6, v8
	;; [unrolled: 1-line block ×3, first 2 shown]
	v_sub_f32_e32 v11, v8, v13
	v_sub_f32_e32 v6, v6, v11
	v_add_f32_e32 v11, v9, v8
	v_sub_f32_e32 v12, v11, v9
	v_sub_f32_e32 v13, v11, v12
	;; [unrolled: 1-line block ×4, first 2 shown]
	v_add_f32_e32 v8, v8, v9
	v_add_f32_e32 v9, v10, v6
	v_sub_f32_e32 v12, v9, v10
	v_sub_f32_e32 v13, v9, v12
	v_add_f32_e32 v8, v9, v8
	v_sub_f32_e32 v10, v10, v13
	v_sub_f32_e32 v6, v6, v12
	v_add_f32_e32 v9, v11, v8
	v_add_f32_e32 v6, v6, v10
	v_sub_f32_e32 v10, v9, v11
	v_sub_f32_e32 v8, v8, v10
	v_add_f32_e32 v6, v6, v8
	v_add_f32_e32 v8, v9, v6
	v_sub_f32_e32 v9, v8, v9
	v_sub_f32_e32 v6, v6, v9
	v_mul_f32_e32 v9, v5, v8
	v_fma_f32 v8, v5, v8, -v9
	v_fmac_f32_e32 v8, v5, v6
	s_movk_i32 s11, 0x204
	v_add_f32_e32 v6, v9, v8
	v_cmp_class_f32_e64 vcc, v9, s11
	v_sub_f32_e32 v10, v6, v9
	v_cndmask_b32_e32 v6, v6, v9, vcc
	s_mov_b32 s1, 0x42b17218
	v_mov_b32_e32 v9, 0x37000000
	v_cmp_eq_f32_e32 vcc, s1, v6
	v_cndmask_b32_e32 v9, 0, v9, vcc
	v_sub_f32_e32 v8, v8, v10
	v_sub_f32_e32 v10, v6, v9
	s_mov_b32 s2, 0x3fb8aa3b
	v_mul_f32_e32 v11, 0x3fb8aa3b, v10
	v_fma_f32 v12, v10, s2, -v11
	v_rndne_f32_e32 v13, v11
	v_fmac_f32_e32 v12, 0x32a5705f, v10
	v_sub_f32_e32 v11, v11, v13
	v_add_f32_e32 v11, v11, v12
	v_exp_f32_e32 v11, v11
	v_cvt_i32_f32_e32 v12, v13
	s_mov_b32 s0, 0x7f800000
	v_cmp_neq_f32_e64 vcc, |v6|, s0
	s_mov_b32 s0, 0xc2ce8ed0
	v_cndmask_b32_e32 v6, 0, v8, vcc
	v_ldexp_f32 v8, v11, v12
	v_cmp_ngt_f32_e32 vcc, s0, v10
	v_add_f32_e32 v6, v9, v6
	v_cndmask_b32_e32 v8, 0, v8, vcc
	v_mov_b32_e32 v9, 0x7f800000
	v_cmp_nlt_f32_e32 vcc, s1, v10
	v_cndmask_b32_e32 v8, v9, v8, vcc
	v_fma_f32 v6, v8, v6, v8
	v_cmp_class_f32_e64 vcc, v8, s11
	v_cndmask_b32_e32 v6, v6, v8, vcc
	v_trunc_f32_e32 v8, v5
	v_cmp_eq_f32_e32 vcc, v8, v5
	v_mul_f32_e32 v8, 0.5, v5
	v_trunc_f32_e32 v11, v8
	v_cmp_neq_f32_e64 s[0:1], v11, v8
	s_and_b64 s[0:1], vcc, s[0:1]
	v_cndmask_b32_e64 v8, 1.0, v4, s[0:1]
	s_brev_b32 s24, -2
	v_mov_b32_e32 v10, 0x7fc00000
	v_bfi_b32 v6, s24, v6, v8
	v_cmp_neq_f32_e64 s[2:3], v5, |v5|
	v_cmp_lt_f32_e64 s[28:29], |v4|, 1.0
	v_cndmask_b32_e32 v8, v10, v6, vcc
	v_cmp_gt_f32_e32 vcc, 0, v4
	s_xor_b64 s[2:3], s[2:3], s[28:29]
	v_cndmask_b32_e32 v6, v6, v8, vcc
	v_cndmask_b32_e64 v8, v9, 0, s[2:3]
	v_cmp_neq_f32_e64 vcc, |v4|, 1.0
	v_cndmask_b32_e32 v8, 1.0, v8, vcc
	v_cmp_class_f32_e64 vcc, v5, s11
	v_cndmask_b32_e32 v6, v6, v8, vcc
	v_cmp_eq_f32_e32 vcc, 0, v4
	v_cmp_gt_f32_e64 s[2:3], 0, v5
	s_xor_b64 s[2:3], s[2:3], vcc
	s_waitcnt vmcnt(0)
	v_cvt_f32_i32_e32 v7, v7
	v_cmp_class_f32_e64 s[28:29], v4, s11
	v_cndmask_b32_e64 v5, v9, 0, s[2:3]
	v_cndmask_b32_e64 v8, 0, v4, s[0:1]
	v_bfi_b32 v5, s24, v5, v8
	s_or_b64 vcc, vcc, s[28:29]
	v_cndmask_b32_e32 v5, v6, v5, vcc
	v_cmp_o_f32_e32 vcc, v4, v4
	v_cndmask_b32_e32 v4, v10, v5, vcc
	v_mul_f32_e32 v5, v4, v7
                                        ; implicit-def: $vgpr4
                                        ; implicit-def: $vgpr6
.LBB9_23:
	s_andn2_saveexec_b64 s[20:21], s[20:21]
	s_cbranch_execz .LBB9_25
; %bb.24:
	v_mov_b32_e32 v5, 0
	v_lshlrev_b64 v[4:5], 2, v[4:5]
	v_mov_b32_e32 v7, s27
	v_add_co_u32_e32 v4, vcc, s26, v4
	v_addc_co_u32_e32 v5, vcc, v7, v5, vcc
	global_load_dword v7, v[4:5], off
	v_cvt_f32_i32_e32 v4, v6
	v_cmp_neq_f32_e64 vcc, s9, 1.0
	v_mov_b32_e32 v6, s9
	s_mov_b32 s0, 0x3f2aaaab
	v_mul_f32_e32 v4, 0.5, v4
	v_cndmask_b32_e32 v5, 1.0, v4, vcc
	v_cmp_neq_f32_e32 vcc, 0, v5
	v_cndmask_b32_e32 v4, 1.0, v6, vcc
	v_frexp_mant_f32_e64 v6, |v4|
	v_cmp_gt_f32_e32 vcc, s0, v6
	v_cndmask_b32_e64 v12, 1.0, 2.0, vcc
	v_mul_f32_e32 v6, v6, v12
	v_add_f32_e32 v13, 1.0, v6
	v_cvt_f64_f32_e64 v[8:9], |v4|
	v_rcp_f32_e32 v14, v13
	v_add_f32_e32 v12, -1.0, v6
	v_add_f32_e32 v15, -1.0, v13
	v_frexp_exp_i32_f64_e32 v8, v[8:9]
	v_mul_f32_e32 v9, v12, v14
	v_sub_f32_e32 v6, v6, v15
	v_mul_f32_e32 v15, v13, v9
	v_fma_f32 v13, v9, v13, -v15
	v_fmac_f32_e32 v13, v9, v6
	v_add_f32_e32 v6, v15, v13
	v_sub_f32_e32 v16, v12, v6
	v_sub_f32_e32 v15, v6, v15
	;; [unrolled: 1-line block ×5, first 2 shown]
	v_add_f32_e32 v6, v13, v6
	v_add_f32_e32 v6, v16, v6
	v_mul_f32_e32 v6, v14, v6
	v_add_f32_e32 v13, v9, v6
	v_sub_f32_e32 v9, v13, v9
	v_mul_f32_e32 v14, v13, v13
	v_sub_f32_e32 v6, v6, v9
	v_fma_f32 v9, v13, v13, -v14
	v_add_f32_e32 v15, v6, v6
	v_fmac_f32_e32 v9, v13, v15
	v_mov_b32_e32 v10, 0x3e91f4c4
	v_add_f32_e32 v15, v14, v9
	v_mov_b32_e32 v11, 0x3ecccdef
	v_fmac_f32_e32 v10, 0x3e76c4e1, v15
	v_mul_f32_e32 v16, v13, v15
	v_sub_f32_e32 v14, v15, v14
	v_fmac_f32_e32 v11, v15, v10
	v_fma_f32 v10, v15, v13, -v16
	v_sub_f32_e32 v9, v9, v14
	v_fmac_f32_e32 v10, v15, v6
	v_mul_f32_e32 v14, v15, v11
	v_fmac_f32_e32 v10, v9, v13
	v_fma_f32 v15, v15, v11, -v14
	v_add_f32_e32 v17, v16, v10
	v_fmac_f32_e32 v15, v9, v11
	v_sub_f32_e32 v9, v17, v16
	v_add_f32_e32 v11, v14, v15
	v_sub_f32_e32 v9, v10, v9
	v_add_f32_e32 v10, 0x3f2aaaaa, v11
	v_sub_f32_e32 v14, v11, v14
	v_sub_f32_e32 v14, v15, v14
	v_add_f32_e32 v15, 0xbf2aaaaa, v10
	v_subbrev_co_u32_e32 v8, vcc, 0, v8, vcc
	v_add_f32_e32 v14, 0x31739010, v14
	v_sub_f32_e32 v11, v11, v15
	v_cvt_f32_i32_e32 v8, v8
	v_add_f32_e32 v11, v14, v11
	v_add_f32_e32 v14, v10, v11
	v_sub_f32_e32 v10, v10, v14
	v_mul_f32_e32 v15, v17, v14
	v_add_f32_e32 v10, v11, v10
	v_fma_f32 v11, v17, v14, -v15
	s_mov_b32 s1, 0x3f317218
	v_mul_f32_e32 v12, 0x3f317218, v8
	v_fmac_f32_e32 v11, v17, v10
	v_fmac_f32_e32 v11, v9, v14
	v_fma_f32 v9, v8, s1, -v12
	v_fmac_f32_e32 v9, 0xb102e308, v8
	v_add_f32_e32 v10, v12, v9
	v_sub_f32_e32 v12, v10, v12
	v_sub_f32_e32 v9, v9, v12
	v_add_f32_e32 v12, v15, v11
	v_ldexp_f32 v8, v13, 1
	v_sub_f32_e32 v13, v12, v15
	v_sub_f32_e32 v11, v11, v13
	v_add_f32_e32 v13, v8, v12
	v_ldexp_f32 v6, v6, 1
	v_sub_f32_e32 v8, v13, v8
	v_sub_f32_e32 v8, v12, v8
	v_add_f32_e32 v6, v6, v11
	v_add_f32_e32 v6, v6, v8
	;; [unrolled: 1-line block ×3, first 2 shown]
	v_sub_f32_e32 v11, v8, v13
	v_sub_f32_e32 v6, v6, v11
	v_add_f32_e32 v11, v10, v8
	v_sub_f32_e32 v12, v11, v10
	v_sub_f32_e32 v13, v11, v12
	v_sub_f32_e32 v10, v10, v13
	v_sub_f32_e32 v8, v8, v12
	v_add_f32_e32 v8, v8, v10
	v_add_f32_e32 v10, v9, v6
	v_sub_f32_e32 v12, v10, v9
	v_sub_f32_e32 v13, v10, v12
	;; [unrolled: 1-line block ×4, first 2 shown]
	v_add_f32_e32 v8, v10, v8
	v_add_f32_e32 v6, v6, v9
	v_add_f32_e32 v9, v11, v8
	v_sub_f32_e32 v10, v9, v11
	v_sub_f32_e32 v8, v8, v10
	v_add_f32_e32 v6, v6, v8
	v_add_f32_e32 v8, v9, v6
	v_sub_f32_e32 v9, v8, v9
	v_sub_f32_e32 v6, v6, v9
	v_mul_f32_e32 v9, v5, v8
	v_fma_f32 v8, v5, v8, -v9
	v_fmac_f32_e32 v8, v5, v6
	s_movk_i32 s11, 0x204
	v_add_f32_e32 v6, v9, v8
	v_cmp_class_f32_e64 vcc, v9, s11
	v_sub_f32_e32 v10, v6, v9
	v_cndmask_b32_e32 v6, v6, v9, vcc
	s_mov_b32 s1, 0x42b17218
	v_mov_b32_e32 v9, 0x37000000
	v_cmp_eq_f32_e32 vcc, s1, v6
	v_cndmask_b32_e32 v9, 0, v9, vcc
	v_sub_f32_e32 v8, v8, v10
	v_sub_f32_e32 v10, v6, v9
	s_mov_b32 s2, 0x3fb8aa3b
	v_mul_f32_e32 v11, 0x3fb8aa3b, v10
	v_fma_f32 v12, v10, s2, -v11
	v_rndne_f32_e32 v13, v11
	v_fmac_f32_e32 v12, 0x32a5705f, v10
	v_sub_f32_e32 v11, v11, v13
	v_add_f32_e32 v11, v11, v12
	v_exp_f32_e32 v11, v11
	v_cvt_i32_f32_e32 v12, v13
	s_mov_b32 s0, 0x7f800000
	v_cmp_neq_f32_e64 vcc, |v6|, s0
	s_mov_b32 s0, 0xc2ce8ed0
	v_cndmask_b32_e32 v6, 0, v8, vcc
	v_ldexp_f32 v8, v11, v12
	v_cmp_ngt_f32_e32 vcc, s0, v10
	v_add_f32_e32 v6, v9, v6
	v_cndmask_b32_e32 v8, 0, v8, vcc
	v_mov_b32_e32 v9, 0x7f800000
	v_cmp_nlt_f32_e32 vcc, s1, v10
	v_cndmask_b32_e32 v8, v9, v8, vcc
	v_fma_f32 v6, v8, v6, v8
	v_cmp_class_f32_e64 vcc, v8, s11
	v_cndmask_b32_e32 v6, v6, v8, vcc
	v_trunc_f32_e32 v8, v5
	v_cmp_eq_f32_e32 vcc, v8, v5
	v_mul_f32_e32 v8, 0.5, v5
	v_trunc_f32_e32 v11, v8
	v_cmp_neq_f32_e64 s[0:1], v11, v8
	s_and_b64 s[0:1], vcc, s[0:1]
	v_cndmask_b32_e64 v8, 1.0, v4, s[0:1]
	s_brev_b32 s24, -2
	v_mov_b32_e32 v10, 0x7fc00000
	v_bfi_b32 v6, s24, v6, v8
	v_cmp_neq_f32_e64 s[2:3], v5, |v5|
	v_cmp_lt_f32_e64 s[28:29], |v4|, 1.0
	v_cndmask_b32_e32 v8, v10, v6, vcc
	v_cmp_gt_f32_e32 vcc, 0, v4
	s_xor_b64 s[2:3], s[2:3], s[28:29]
	v_cndmask_b32_e32 v6, v6, v8, vcc
	v_cndmask_b32_e64 v8, v9, 0, s[2:3]
	v_cmp_neq_f32_e64 vcc, |v4|, 1.0
	v_cndmask_b32_e32 v8, 1.0, v8, vcc
	v_cmp_class_f32_e64 vcc, v5, s11
	v_cndmask_b32_e32 v6, v6, v8, vcc
	v_cmp_eq_f32_e32 vcc, 0, v4
	v_cmp_gt_f32_e64 s[2:3], 0, v5
	s_xor_b64 s[2:3], s[2:3], vcc
	s_waitcnt vmcnt(0)
	v_cvt_f32_i32_e32 v7, v7
	v_cmp_class_f32_e64 s[28:29], v4, s11
	v_cndmask_b32_e64 v5, v9, 0, s[2:3]
	v_cndmask_b32_e64 v8, 0, v4, s[0:1]
	v_bfi_b32 v5, s24, v5, v8
	s_or_b64 vcc, vcc, s[28:29]
	v_cndmask_b32_e32 v5, v6, v5, vcc
	v_cmp_o_f32_e32 vcc, v4, v4
	v_cndmask_b32_e32 v4, v10, v5, vcc
	v_mul_f32_e32 v5, v4, v7
.LBB9_25:
	s_or_b64 exec, exec, s[20:21]
                                        ; implicit-def: $vgpr4
                                        ; implicit-def: $vgpr6
.LBB9_26:
	s_andn2_saveexec_b64 s[20:21], s[22:23]
	s_cbranch_execz .LBB9_28
; %bb.27:
	v_lshl_add_u32 v4, s10, 1, v4
	v_mov_b32_e32 v5, 0
	v_lshlrev_b64 v[4:5], 2, v[4:5]
	v_mov_b32_e32 v7, s27
	v_add_co_u32_e32 v4, vcc, s26, v4
	v_addc_co_u32_e32 v5, vcc, v7, v5, vcc
	global_load_dword v7, v[4:5], off
	v_cvt_f32_i32_e32 v4, v6
	v_cmp_neq_f32_e64 vcc, s9, 1.0
	v_mov_b32_e32 v6, s9
	s_mov_b32 s0, 0x3f2aaaab
	v_mul_f32_e32 v4, 0.5, v4
	v_cndmask_b32_e32 v5, 1.0, v4, vcc
	v_cmp_neq_f32_e32 vcc, 0, v5
	v_cndmask_b32_e32 v4, 1.0, v6, vcc
	v_frexp_mant_f32_e64 v6, |v4|
	v_cmp_gt_f32_e32 vcc, s0, v6
	v_cndmask_b32_e64 v12, 1.0, 2.0, vcc
	v_mul_f32_e32 v6, v6, v12
	v_add_f32_e32 v13, 1.0, v6
	v_cvt_f64_f32_e64 v[8:9], |v4|
	v_rcp_f32_e32 v14, v13
	v_add_f32_e32 v12, -1.0, v6
	v_add_f32_e32 v15, -1.0, v13
	v_frexp_exp_i32_f64_e32 v8, v[8:9]
	v_mul_f32_e32 v9, v12, v14
	v_sub_f32_e32 v6, v6, v15
	v_mul_f32_e32 v15, v13, v9
	v_fma_f32 v13, v9, v13, -v15
	v_fmac_f32_e32 v13, v9, v6
	v_add_f32_e32 v6, v15, v13
	v_sub_f32_e32 v16, v12, v6
	v_sub_f32_e32 v15, v6, v15
	;; [unrolled: 1-line block ×5, first 2 shown]
	v_add_f32_e32 v6, v13, v6
	v_add_f32_e32 v6, v16, v6
	v_mul_f32_e32 v6, v14, v6
	v_add_f32_e32 v12, v9, v6
	v_sub_f32_e32 v9, v12, v9
	v_mul_f32_e32 v13, v12, v12
	v_sub_f32_e32 v6, v6, v9
	v_fma_f32 v9, v12, v12, -v13
	v_add_f32_e32 v14, v6, v6
	v_fmac_f32_e32 v9, v12, v14
	v_mov_b32_e32 v10, 0x3e91f4c4
	v_add_f32_e32 v14, v13, v9
	v_mov_b32_e32 v11, 0x3ecccdef
	v_fmac_f32_e32 v10, 0x3e76c4e1, v14
	v_mul_f32_e32 v15, v12, v14
	v_sub_f32_e32 v13, v14, v13
	v_fmac_f32_e32 v11, v14, v10
	v_fma_f32 v10, v14, v12, -v15
	v_sub_f32_e32 v9, v9, v13
	v_fmac_f32_e32 v10, v14, v6
	v_mul_f32_e32 v13, v14, v11
	v_fmac_f32_e32 v10, v9, v12
	v_fma_f32 v14, v14, v11, -v13
	v_add_f32_e32 v16, v15, v10
	v_fmac_f32_e32 v14, v9, v11
	v_sub_f32_e32 v9, v16, v15
	v_add_f32_e32 v11, v13, v14
	v_sub_f32_e32 v9, v10, v9
	v_add_f32_e32 v10, 0x3f2aaaaa, v11
	v_sub_f32_e32 v13, v11, v13
	v_sub_f32_e32 v13, v14, v13
	v_add_f32_e32 v14, 0xbf2aaaaa, v10
	v_add_f32_e32 v13, 0x31739010, v13
	v_sub_f32_e32 v11, v11, v14
	v_subbrev_co_u32_e32 v8, vcc, 0, v8, vcc
	v_add_f32_e32 v11, v13, v11
	v_cvt_f32_i32_e32 v8, v8
	v_add_f32_e32 v13, v10, v11
	v_sub_f32_e32 v10, v10, v13
	v_mul_f32_e32 v14, v16, v13
	v_add_f32_e32 v10, v11, v10
	v_fma_f32 v11, v16, v13, -v14
	v_fmac_f32_e32 v11, v16, v10
	s_mov_b32 s1, 0x3f317218
	v_fmac_f32_e32 v11, v9, v13
	v_mul_f32_e32 v9, 0x3f317218, v8
	v_fma_f32 v10, v8, s1, -v9
	v_fmac_f32_e32 v10, 0xb102e308, v8
	v_ldexp_f32 v8, v12, 1
	v_add_f32_e32 v12, v9, v10
	v_sub_f32_e32 v9, v12, v9
	v_sub_f32_e32 v9, v10, v9
	v_add_f32_e32 v10, v14, v11
	v_sub_f32_e32 v13, v10, v14
	v_sub_f32_e32 v11, v11, v13
	v_add_f32_e32 v13, v8, v10
	v_ldexp_f32 v6, v6, 1
	v_sub_f32_e32 v8, v13, v8
	v_sub_f32_e32 v8, v10, v8
	v_add_f32_e32 v6, v6, v11
	v_add_f32_e32 v6, v6, v8
	;; [unrolled: 1-line block ×3, first 2 shown]
	v_sub_f32_e32 v10, v8, v13
	v_sub_f32_e32 v6, v6, v10
	v_add_f32_e32 v10, v12, v8
	v_sub_f32_e32 v11, v10, v12
	v_sub_f32_e32 v13, v10, v11
	;; [unrolled: 1-line block ×4, first 2 shown]
	v_add_f32_e32 v11, v9, v6
	v_add_f32_e32 v8, v8, v12
	v_sub_f32_e32 v12, v11, v9
	v_sub_f32_e32 v13, v11, v12
	;; [unrolled: 1-line block ×4, first 2 shown]
	v_add_f32_e32 v8, v11, v8
	v_add_f32_e32 v6, v6, v9
	;; [unrolled: 1-line block ×3, first 2 shown]
	v_sub_f32_e32 v10, v9, v10
	v_sub_f32_e32 v8, v8, v10
	v_add_f32_e32 v6, v6, v8
	v_add_f32_e32 v8, v9, v6
	v_sub_f32_e32 v9, v8, v9
	v_sub_f32_e32 v6, v6, v9
	v_mul_f32_e32 v9, v5, v8
	v_fma_f32 v8, v5, v8, -v9
	v_fmac_f32_e32 v8, v5, v6
	s_movk_i32 s11, 0x204
	v_add_f32_e32 v6, v9, v8
	v_cmp_class_f32_e64 vcc, v9, s11
	v_sub_f32_e32 v10, v6, v9
	v_cndmask_b32_e32 v6, v6, v9, vcc
	s_mov_b32 s1, 0x42b17218
	v_mov_b32_e32 v9, 0x37000000
	v_cmp_eq_f32_e32 vcc, s1, v6
	v_cndmask_b32_e32 v9, 0, v9, vcc
	v_sub_f32_e32 v8, v8, v10
	v_sub_f32_e32 v10, v6, v9
	s_mov_b32 s2, 0x3fb8aa3b
	v_mul_f32_e32 v11, 0x3fb8aa3b, v10
	v_fma_f32 v12, v10, s2, -v11
	v_rndne_f32_e32 v13, v11
	v_fmac_f32_e32 v12, 0x32a5705f, v10
	v_sub_f32_e32 v11, v11, v13
	v_add_f32_e32 v11, v11, v12
	v_exp_f32_e32 v11, v11
	v_cvt_i32_f32_e32 v12, v13
	s_mov_b32 s0, 0x7f800000
	v_cmp_neq_f32_e64 vcc, |v6|, s0
	s_mov_b32 s0, 0xc2ce8ed0
	v_cndmask_b32_e32 v6, 0, v8, vcc
	v_ldexp_f32 v8, v11, v12
	v_cmp_ngt_f32_e32 vcc, s0, v10
	v_add_f32_e32 v6, v9, v6
	v_cndmask_b32_e32 v8, 0, v8, vcc
	v_mov_b32_e32 v9, 0x7f800000
	v_cmp_nlt_f32_e32 vcc, s1, v10
	v_cndmask_b32_e32 v8, v9, v8, vcc
	v_fma_f32 v6, v8, v6, v8
	v_cmp_class_f32_e64 vcc, v8, s11
	v_cndmask_b32_e32 v6, v6, v8, vcc
	v_trunc_f32_e32 v8, v5
	v_cmp_eq_f32_e32 vcc, v8, v5
	v_mul_f32_e32 v8, 0.5, v5
	v_trunc_f32_e32 v11, v8
	v_cmp_neq_f32_e64 s[0:1], v11, v8
	s_and_b64 s[0:1], vcc, s[0:1]
	v_cndmask_b32_e64 v8, 1.0, v4, s[0:1]
	s_brev_b32 s24, -2
	v_mov_b32_e32 v10, 0x7fc00000
	v_bfi_b32 v6, s24, v6, v8
	v_cmp_neq_f32_e64 s[2:3], v5, |v5|
	v_cmp_lt_f32_e64 s[22:23], |v4|, 1.0
	v_cndmask_b32_e32 v8, v10, v6, vcc
	v_cmp_gt_f32_e32 vcc, 0, v4
	s_xor_b64 s[2:3], s[2:3], s[22:23]
	v_cndmask_b32_e32 v6, v6, v8, vcc
	v_cndmask_b32_e64 v8, v9, 0, s[2:3]
	v_cmp_neq_f32_e64 vcc, |v4|, 1.0
	v_cndmask_b32_e32 v8, 1.0, v8, vcc
	v_cmp_class_f32_e64 vcc, v5, s11
	v_cndmask_b32_e32 v6, v6, v8, vcc
	v_cmp_eq_f32_e32 vcc, 0, v4
	v_cmp_gt_f32_e64 s[2:3], 0, v5
	s_xor_b64 s[2:3], s[2:3], vcc
	s_waitcnt vmcnt(0)
	v_cvt_f32_i32_e32 v7, v7
	v_cmp_class_f32_e64 s[22:23], v4, s11
	v_cndmask_b32_e64 v5, v9, 0, s[2:3]
	v_cndmask_b32_e64 v8, 0, v4, s[0:1]
	v_bfi_b32 v5, s24, v5, v8
	s_or_b64 vcc, vcc, s[22:23]
	v_cndmask_b32_e32 v5, v6, v5, vcc
	v_cmp_o_f32_e32 vcc, v4, v4
	v_cndmask_b32_e32 v4, v10, v5, vcc
	v_mul_f32_e32 v5, v4, v7
.LBB9_28:
	s_or_b64 exec, exec, s[20:21]
                                        ; implicit-def: $vgpr4
                                        ; implicit-def: $vgpr6
.LBB9_29:
	s_andn2_saveexec_b64 s[6:7], s[6:7]
	s_cbranch_execz .LBB9_31
; %bb.30:
	v_add_u32_e32 v4, s10, v4
	v_mov_b32_e32 v5, 0
	v_lshlrev_b64 v[4:5], 2, v[4:5]
	v_mov_b32_e32 v7, s27
	v_add_co_u32_e32 v4, vcc, s26, v4
	v_addc_co_u32_e32 v5, vcc, v7, v5, vcc
	global_load_dword v7, v[4:5], off
	v_cvt_f32_i32_e32 v4, v6
	v_cmp_neq_f32_e64 vcc, s9, 1.0
	v_mov_b32_e32 v6, s9
	s_mov_b32 s0, 0x3f2aaaab
	v_mul_f32_e32 v4, 0.5, v4
	v_cndmask_b32_e32 v5, 1.0, v4, vcc
	v_cmp_neq_f32_e32 vcc, 0, v5
	v_cndmask_b32_e32 v4, 1.0, v6, vcc
	v_frexp_mant_f32_e64 v6, |v4|
	v_cmp_gt_f32_e32 vcc, s0, v6
	v_cndmask_b32_e64 v12, 1.0, 2.0, vcc
	v_mul_f32_e32 v6, v6, v12
	v_add_f32_e32 v13, 1.0, v6
	v_cvt_f64_f32_e64 v[8:9], |v4|
	v_rcp_f32_e32 v14, v13
	v_add_f32_e32 v12, -1.0, v6
	v_add_f32_e32 v15, -1.0, v13
	v_frexp_exp_i32_f64_e32 v8, v[8:9]
	v_mul_f32_e32 v9, v12, v14
	v_sub_f32_e32 v6, v6, v15
	v_mul_f32_e32 v15, v13, v9
	v_fma_f32 v13, v9, v13, -v15
	v_fmac_f32_e32 v13, v9, v6
	v_add_f32_e32 v6, v15, v13
	v_sub_f32_e32 v16, v12, v6
	v_sub_f32_e32 v15, v6, v15
	;; [unrolled: 1-line block ×5, first 2 shown]
	v_add_f32_e32 v6, v13, v6
	v_add_f32_e32 v6, v16, v6
	v_mul_f32_e32 v6, v14, v6
	v_add_f32_e32 v12, v9, v6
	v_sub_f32_e32 v9, v12, v9
	v_mul_f32_e32 v13, v12, v12
	v_sub_f32_e32 v6, v6, v9
	v_fma_f32 v9, v12, v12, -v13
	v_add_f32_e32 v14, v6, v6
	v_fmac_f32_e32 v9, v12, v14
	v_mov_b32_e32 v10, 0x3e91f4c4
	v_add_f32_e32 v14, v13, v9
	v_mov_b32_e32 v11, 0x3ecccdef
	v_fmac_f32_e32 v10, 0x3e76c4e1, v14
	v_mul_f32_e32 v15, v12, v14
	v_sub_f32_e32 v13, v14, v13
	v_fmac_f32_e32 v11, v14, v10
	v_fma_f32 v10, v14, v12, -v15
	v_sub_f32_e32 v9, v9, v13
	v_fmac_f32_e32 v10, v14, v6
	v_mul_f32_e32 v13, v14, v11
	v_fmac_f32_e32 v10, v9, v12
	v_fma_f32 v14, v14, v11, -v13
	v_add_f32_e32 v16, v15, v10
	v_fmac_f32_e32 v14, v9, v11
	v_sub_f32_e32 v9, v16, v15
	v_add_f32_e32 v11, v13, v14
	v_sub_f32_e32 v9, v10, v9
	v_add_f32_e32 v10, 0x3f2aaaaa, v11
	v_sub_f32_e32 v13, v11, v13
	v_sub_f32_e32 v13, v14, v13
	v_add_f32_e32 v14, 0xbf2aaaaa, v10
	v_add_f32_e32 v13, 0x31739010, v13
	v_sub_f32_e32 v11, v11, v14
	v_subbrev_co_u32_e32 v8, vcc, 0, v8, vcc
	v_add_f32_e32 v11, v13, v11
	v_cvt_f32_i32_e32 v8, v8
	v_add_f32_e32 v13, v10, v11
	v_sub_f32_e32 v10, v10, v13
	v_mul_f32_e32 v14, v16, v13
	v_add_f32_e32 v10, v11, v10
	v_fma_f32 v11, v16, v13, -v14
	v_fmac_f32_e32 v11, v16, v10
	s_mov_b32 s1, 0x3f317218
	v_fmac_f32_e32 v11, v9, v13
	v_mul_f32_e32 v9, 0x3f317218, v8
	v_fma_f32 v10, v8, s1, -v9
	v_fmac_f32_e32 v10, 0xb102e308, v8
	v_ldexp_f32 v8, v12, 1
	v_add_f32_e32 v12, v9, v10
	v_sub_f32_e32 v9, v12, v9
	v_sub_f32_e32 v9, v10, v9
	v_add_f32_e32 v10, v14, v11
	v_sub_f32_e32 v13, v10, v14
	v_sub_f32_e32 v11, v11, v13
	v_add_f32_e32 v13, v8, v10
	v_ldexp_f32 v6, v6, 1
	v_sub_f32_e32 v8, v13, v8
	v_sub_f32_e32 v8, v10, v8
	v_add_f32_e32 v6, v6, v11
	v_add_f32_e32 v6, v6, v8
	;; [unrolled: 1-line block ×3, first 2 shown]
	v_sub_f32_e32 v10, v8, v13
	v_sub_f32_e32 v6, v6, v10
	v_add_f32_e32 v10, v12, v8
	v_sub_f32_e32 v11, v10, v12
	v_sub_f32_e32 v13, v10, v11
	;; [unrolled: 1-line block ×4, first 2 shown]
	v_add_f32_e32 v11, v9, v6
	v_add_f32_e32 v8, v8, v12
	v_sub_f32_e32 v12, v11, v9
	v_sub_f32_e32 v13, v11, v12
	;; [unrolled: 1-line block ×4, first 2 shown]
	v_add_f32_e32 v8, v11, v8
	v_add_f32_e32 v6, v6, v9
	;; [unrolled: 1-line block ×3, first 2 shown]
	v_sub_f32_e32 v10, v9, v10
	v_sub_f32_e32 v8, v8, v10
	v_add_f32_e32 v6, v6, v8
	v_add_f32_e32 v8, v9, v6
	v_sub_f32_e32 v9, v8, v9
	v_sub_f32_e32 v6, v6, v9
	v_mul_f32_e32 v9, v5, v8
	v_fma_f32 v8, v5, v8, -v9
	v_fmac_f32_e32 v8, v5, v6
	s_movk_i32 s9, 0x204
	v_add_f32_e32 v6, v9, v8
	v_cmp_class_f32_e64 vcc, v9, s9
	v_sub_f32_e32 v10, v6, v9
	v_cndmask_b32_e32 v6, v6, v9, vcc
	s_mov_b32 s1, 0x42b17218
	v_mov_b32_e32 v9, 0x37000000
	v_cmp_eq_f32_e32 vcc, s1, v6
	v_cndmask_b32_e32 v9, 0, v9, vcc
	v_sub_f32_e32 v8, v8, v10
	v_sub_f32_e32 v10, v6, v9
	s_mov_b32 s2, 0x3fb8aa3b
	v_mul_f32_e32 v11, 0x3fb8aa3b, v10
	v_fma_f32 v12, v10, s2, -v11
	v_rndne_f32_e32 v13, v11
	v_fmac_f32_e32 v12, 0x32a5705f, v10
	v_sub_f32_e32 v11, v11, v13
	v_add_f32_e32 v11, v11, v12
	v_exp_f32_e32 v11, v11
	v_cvt_i32_f32_e32 v12, v13
	s_mov_b32 s0, 0x7f800000
	v_cmp_neq_f32_e64 vcc, |v6|, s0
	s_mov_b32 s0, 0xc2ce8ed0
	v_cndmask_b32_e32 v6, 0, v8, vcc
	v_ldexp_f32 v8, v11, v12
	v_cmp_ngt_f32_e32 vcc, s0, v10
	v_add_f32_e32 v6, v9, v6
	v_cndmask_b32_e32 v8, 0, v8, vcc
	v_mov_b32_e32 v9, 0x7f800000
	v_cmp_nlt_f32_e32 vcc, s1, v10
	v_cndmask_b32_e32 v8, v9, v8, vcc
	v_fma_f32 v6, v8, v6, v8
	v_cmp_class_f32_e64 vcc, v8, s9
	v_cndmask_b32_e32 v6, v6, v8, vcc
	v_trunc_f32_e32 v8, v5
	v_cmp_eq_f32_e32 vcc, v8, v5
	v_mul_f32_e32 v8, 0.5, v5
	v_trunc_f32_e32 v11, v8
	v_cmp_neq_f32_e64 s[0:1], v11, v8
	s_and_b64 s[0:1], vcc, s[0:1]
	v_cndmask_b32_e64 v8, 1.0, v4, s[0:1]
	s_brev_b32 s20, -2
	v_mov_b32_e32 v10, 0x7fc00000
	v_bfi_b32 v6, s20, v6, v8
	v_cmp_neq_f32_e64 s[2:3], v5, |v5|
	v_cmp_lt_f32_e64 s[10:11], |v4|, 1.0
	v_cndmask_b32_e32 v8, v10, v6, vcc
	v_cmp_gt_f32_e32 vcc, 0, v4
	s_xor_b64 s[2:3], s[2:3], s[10:11]
	v_cndmask_b32_e32 v6, v6, v8, vcc
	v_cndmask_b32_e64 v8, v9, 0, s[2:3]
	v_cmp_neq_f32_e64 vcc, |v4|, 1.0
	v_cndmask_b32_e32 v8, 1.0, v8, vcc
	v_cmp_class_f32_e64 vcc, v5, s9
	v_cndmask_b32_e32 v6, v6, v8, vcc
	v_cmp_eq_f32_e32 vcc, 0, v4
	v_cmp_gt_f32_e64 s[2:3], 0, v5
	s_xor_b64 s[2:3], s[2:3], vcc
	s_waitcnt vmcnt(0)
	v_cvt_f32_i32_e32 v7, v7
	v_cmp_class_f32_e64 s[10:11], v4, s9
	v_cndmask_b32_e64 v5, v9, 0, s[2:3]
	v_cndmask_b32_e64 v8, 0, v4, s[0:1]
	v_bfi_b32 v5, s20, v5, v8
	s_or_b64 vcc, vcc, s[10:11]
	v_cndmask_b32_e32 v5, v6, v5, vcc
	v_cmp_o_f32_e32 vcc, v4, v4
	v_cndmask_b32_e32 v4, v10, v5, vcc
	v_mul_f32_e32 v5, v4, v7
.LBB9_31:
	s_or_b64 exec, exec, s[6:7]
.LBB9_32:
	s_load_dwordx2 s[0:1], s[4:5], 0x58
	v_lshlrev_b64 v[3:4], 2, v[2:3]
	s_waitcnt lgkmcnt(0)
	v_mov_b32_e32 v6, s1
	v_add_co_u32_e32 v3, vcc, s0, v3
	v_addc_co_u32_e32 v4, vcc, v6, v4, vcc
	global_load_dword v3, v[3:4], off
	s_waitcnt vmcnt(0)
	v_div_scale_f32 v4, s[0:1], v3, v3, v5
	v_div_scale_f32 v6, vcc, v5, v3, v5
	v_cmp_eq_f32_e64 s[0:1], s13, 0
	v_rcp_f32_e32 v7, v4
	v_fma_f32 v8, -v4, v7, 1.0
	v_fmac_f32_e32 v7, v8, v7
	v_mul_f32_e32 v8, v6, v7
	v_fma_f32 v9, -v4, v8, v6
	v_fmac_f32_e32 v8, v9, v7
	v_fma_f32 v4, -v4, v8, v6
	v_div_fmas_f32 v6, v4, v7, v8
	s_and_b64 vcc, exec, s[0:1]
	v_div_fixup_f32 v5, v6, v3, v5
	v_mul_f32_e32 v3, s12, v5
	s_cbranch_vccnz .LBB9_34
; %bb.33:
	v_cvt_f32_i32_e32 v2, v2
	v_div_scale_f32 v6, s[0:1], s12, s12, 1.0
	v_mov_b32_e32 v4, s15
	v_sub_f32_e32 v4, s8, v4
	v_subrev_f32_e32 v2, s15, v2
	v_max_f32_e32 v4, 0x3a83126f, v4
	v_div_scale_f32 v7, s[0:1], v4, v4, v2
	v_div_scale_f32 v8, s[0:1], 1.0, s12, 1.0
	v_div_scale_f32 v9, vcc, v2, v4, v2
	s_mov_b32 s2, 0x3f317217
	s_mov_b32 s3, 0x7f800000
	v_rcp_f32_e32 v10, v6
	v_fma_f32 v11, -v6, v10, 1.0
	v_fmac_f32_e32 v10, v11, v10
	v_rcp_f32_e32 v12, v7
	v_mul_f32_e32 v11, v8, v10
	v_fma_f32 v13, -v6, v11, v8
	v_fmac_f32_e32 v11, v13, v10
	v_fma_f32 v13, -v7, v12, 1.0
	v_fmac_f32_e32 v12, v13, v12
	v_fma_f32 v6, -v6, v11, v8
	v_mul_f32_e32 v8, v9, v12
	v_fma_f32 v13, -v7, v8, v9
	v_fmac_f32_e32 v8, v13, v12
	v_fma_f32 v7, -v7, v8, v9
	v_div_fmas_f32 v7, v7, v12, v8
	s_mov_b64 vcc, s[0:1]
	v_div_fmas_f32 v6, v6, v10, v11
	s_mov_b32 s0, 0x800000
	v_mov_b32_e32 v8, 0x41b17218
	v_div_fixup_f32 v2, v7, v4, v2 clamp
	v_sub_f32_e32 v2, 1.0, v2
	v_div_fixup_f32 v4, v6, s12, 1.0
	v_cmp_gt_f32_e32 vcc, s0, v4
	s_and_b64 s[0:1], vcc, exec
	s_cselect_b32 s0, 32, 0
	v_ldexp_f32 v4, v4, s0
	v_log_f32_e32 v4, v4
	v_mul_f32_e32 v6, s13, v2
	v_fma_f32 v2, -s13, v2, 1.0
	v_mul_f32_e32 v3, v2, v3
	v_mul_f32_e32 v2, 0x3f317217, v4
	v_fma_f32 v2, v4, s2, -v2
	v_fmac_f32_e32 v2, 0x3377d1cf, v4
	v_cndmask_b32_e32 v7, 0, v8, vcc
	v_fmac_f32_e32 v2, 0x3f317217, v4
	v_cmp_lt_f32_e64 vcc, |v4|, s3
	v_cndmask_b32_e32 v2, v4, v2, vcc
	v_sub_f32_e32 v2, v2, v7
	s_mov_b32 s0, 0x3dcccccd
	v_fma_f32 v2, v2, s0, 1.0
	v_fmac_f32_e32 v3, v6, v5
	v_mul_f32_e32 v4, s14, v2
	s_branch .LBB9_35
.LBB9_34:
	v_mov_b32_e32 v4, s14
.LBB9_35:
	v_and_b32_e32 v5, 0x7fffffff, v3
	s_brev_b32 s0, 18
	v_cmp_nlt_f32_e64 s[6:7], |v3|, s0
	v_lshrrev_b32_e32 v2, 23, v5
                                        ; implicit-def: $vgpr7
                                        ; implicit-def: $vgpr6
	s_and_saveexec_b64 s[0:1], s[6:7]
	s_xor_b64 s[8:9], exec, s[0:1]
	s_cbranch_execz .LBB9_37
; %bb.36:
	v_and_b32_e32 v6, 0x7fffff, v5
	v_or_b32_e32 v15, 0x800000, v6
	s_mov_b32 s0, 0xfe5163ab
	v_mad_u64_u32 v[6:7], s[0:1], v15, s0, 0
	v_mov_b32_e32 v8, 0
	s_mov_b32 s0, 0x3c439041
	v_mad_u64_u32 v[9:10], s[0:1], v15, s0, v[7:8]
	s_mov_b32 s0, 0xdb629599
	v_add_u32_e32 v14, 0xffffff88, v2
	v_mov_b32_e32 v7, v10
	v_mad_u64_u32 v[10:11], s[0:1], v15, s0, v[7:8]
	s_mov_b32 s0, 0xf534ddc0
	v_not_b32_e32 v16, 63
	v_mov_b32_e32 v7, v11
	v_mad_u64_u32 v[11:12], s[0:1], v15, s0, v[7:8]
	s_mov_b32 s0, 0xfc2757d1
	v_cmp_lt_u32_e32 vcc, 63, v14
	v_mov_b32_e32 v7, v12
	v_mad_u64_u32 v[12:13], s[0:1], v15, s0, v[7:8]
	v_cndmask_b32_e32 v7, 0, v16, vcc
	v_add_u32_e32 v16, v7, v14
	v_mov_b32_e32 v7, v13
	s_mov_b32 s0, 0x4e441529
	v_mad_u64_u32 v[13:14], s[0:1], v15, s0, v[7:8]
	v_not_b32_e32 v17, 31
	v_cmp_lt_u32_e64 s[0:1], 31, v16
	v_cndmask_b32_e64 v7, 0, v17, s[0:1]
	v_add_u32_e32 v16, v7, v16
	v_mov_b32_e32 v7, v14
	s_mov_b32 s2, 0xa2f9836e
	v_mad_u64_u32 v[7:8], s[2:3], v15, s2, v[7:8]
	v_cmp_lt_u32_e64 s[2:3], 31, v16
	v_cndmask_b32_e64 v14, 0, v17, s[2:3]
	v_cndmask_b32_e32 v15, v13, v11, vcc
	v_cndmask_b32_e32 v7, v7, v12, vcc
	;; [unrolled: 1-line block ×3, first 2 shown]
	v_add_u32_e32 v14, v14, v16
	v_cndmask_b32_e64 v16, v7, v15, s[0:1]
	v_cndmask_b32_e64 v7, v8, v7, s[0:1]
	v_cndmask_b32_e32 v8, v12, v10, vcc
	v_cndmask_b32_e64 v12, v15, v8, s[0:1]
	v_cndmask_b32_e32 v9, v11, v9, vcc
	v_cndmask_b32_e64 v7, v7, v16, s[2:3]
	v_cndmask_b32_e64 v13, v16, v12, s[2:3]
	v_sub_u32_e32 v15, 32, v14
	v_cndmask_b32_e64 v8, v8, v9, s[0:1]
	v_alignbit_b32 v16, v7, v13, v15
	v_cmp_eq_u32_e64 s[4:5], 0, v14
	v_cndmask_b32_e64 v11, v12, v8, s[2:3]
	v_cndmask_b32_e64 v7, v16, v7, s[4:5]
	v_alignbit_b32 v12, v13, v11, v15
	v_cndmask_b32_e32 v6, v10, v6, vcc
	v_cndmask_b32_e64 v12, v12, v13, s[4:5]
	v_bfe_u32 v16, v7, 29, 1
	v_cndmask_b32_e64 v6, v9, v6, s[0:1]
	v_alignbit_b32 v13, v7, v12, 30
	v_sub_u32_e32 v17, 0, v16
	v_cndmask_b32_e64 v6, v8, v6, s[2:3]
	v_xor_b32_e32 v13, v13, v17
	v_alignbit_b32 v8, v11, v6, v15
	v_cndmask_b32_e64 v8, v8, v11, s[4:5]
	v_ffbh_u32_e32 v10, v13
	v_alignbit_b32 v9, v12, v8, 30
	v_min_u32_e32 v10, 32, v10
	v_alignbit_b32 v6, v8, v6, 30
	v_xor_b32_e32 v9, v9, v17
	v_sub_u32_e32 v11, 31, v10
	v_xor_b32_e32 v6, v6, v17
	v_alignbit_b32 v12, v13, v9, v11
	v_alignbit_b32 v6, v9, v6, v11
	;; [unrolled: 1-line block ×3, first 2 shown]
	v_ffbh_u32_e32 v9, v8
	v_min_u32_e32 v9, 32, v9
	v_lshrrev_b32_e32 v14, 29, v7
	v_not_b32_e32 v11, v9
	v_alignbit_b32 v6, v8, v6, v11
	v_lshlrev_b32_e32 v8, 31, v14
	v_or_b32_e32 v11, 0x33000000, v8
	v_add_lshl_u32 v9, v9, v10, 23
	v_lshrrev_b32_e32 v6, 9, v6
	v_sub_u32_e32 v9, v11, v9
	v_or_b32_e32 v8, 0.5, v8
	v_lshlrev_b32_e32 v10, 23, v10
	v_or_b32_e32 v6, v9, v6
	v_lshrrev_b32_e32 v9, 9, v12
	v_sub_u32_e32 v8, v8, v10
	v_or_b32_e32 v8, v9, v8
	s_mov_b32 s0, 0x3fc90fda
	v_mul_f32_e32 v9, 0x3fc90fda, v8
	v_fma_f32 v10, v8, s0, -v9
	v_fmac_f32_e32 v10, 0x33a22168, v8
	v_fmac_f32_e32 v10, 0x3fc90fda, v6
	v_lshrrev_b32_e32 v7, 30, v7
	v_add_f32_e32 v6, v9, v10
	v_add_u32_e32 v7, v16, v7
	s_andn2_saveexec_b64 s[0:1], s[8:9]
	s_cbranch_execz .LBB9_39
	s_branch .LBB9_38
.LBB9_37:
	s_andn2_saveexec_b64 s[0:1], s[8:9]
	s_cbranch_execz .LBB9_39
.LBB9_38:
	s_mov_b32 s2, 0x3f22f983
	v_mul_f32_e64 v6, |v3|, s2
	v_rndne_f32_e32 v8, v6
	s_mov_b32 s2, 0xbfc90fda
	v_cvt_i32_f32_e32 v7, v8
	v_fma_f32 v6, v8, s2, |v3|
	v_fmac_f32_e32 v6, 0xb3a22168, v8
	v_fmac_f32_e32 v6, 0xa7c234c4, v8
.LBB9_39:
	s_or_b64 exec, exec, s[0:1]
                                        ; implicit-def: $vgpr9
                                        ; implicit-def: $vgpr8
	s_and_saveexec_b64 s[0:1], s[6:7]
	s_xor_b64 s[6:7], exec, s[0:1]
	s_cbranch_execz .LBB9_41
; %bb.40:
	v_and_b32_e32 v8, 0x7fffff, v5
	v_or_b32_e32 v17, 0x800000, v8
	s_mov_b32 s0, 0xfe5163ab
	v_mad_u64_u32 v[8:9], s[0:1], v17, s0, 0
	v_mov_b32_e32 v10, 0
	s_mov_b32 s0, 0x3c439041
	v_mad_u64_u32 v[11:12], s[0:1], v17, s0, v[9:10]
	s_mov_b32 s0, 0xdb629599
	v_add_u32_e32 v2, 0xffffff88, v2
	v_mov_b32_e32 v9, v12
	v_mad_u64_u32 v[12:13], s[0:1], v17, s0, v[9:10]
	s_mov_b32 s0, 0xf534ddc0
	v_not_b32_e32 v16, 63
	v_mov_b32_e32 v9, v13
	v_mad_u64_u32 v[13:14], s[0:1], v17, s0, v[9:10]
	s_mov_b32 s0, 0xfc2757d1
	v_cmp_lt_u32_e32 vcc, 63, v2
	v_mov_b32_e32 v9, v14
	v_mad_u64_u32 v[14:15], s[0:1], v17, s0, v[9:10]
	v_cndmask_b32_e32 v9, 0, v16, vcc
	v_add_u32_e32 v2, v9, v2
	v_mov_b32_e32 v9, v15
	s_mov_b32 s0, 0x4e441529
	v_mad_u64_u32 v[15:16], s[0:1], v17, s0, v[9:10]
	v_not_b32_e32 v18, 31
	v_cmp_lt_u32_e64 s[0:1], 31, v2
	v_cndmask_b32_e64 v9, 0, v18, s[0:1]
	v_add_u32_e32 v2, v9, v2
	v_mov_b32_e32 v9, v16
	s_mov_b32 s2, 0xa2f9836e
	v_mad_u64_u32 v[9:10], s[2:3], v17, s2, v[9:10]
	v_cmp_lt_u32_e64 s[2:3], 31, v2
	v_cndmask_b32_e64 v16, 0, v18, s[2:3]
	v_add_u32_e32 v2, v16, v2
	v_cndmask_b32_e32 v16, v15, v13, vcc
	v_cndmask_b32_e32 v9, v9, v14, vcc
	;; [unrolled: 1-line block ×3, first 2 shown]
	v_cndmask_b32_e64 v17, v9, v16, s[0:1]
	v_cndmask_b32_e64 v9, v10, v9, s[0:1]
	v_cndmask_b32_e32 v10, v14, v12, vcc
	v_cndmask_b32_e64 v14, v16, v10, s[0:1]
	v_cndmask_b32_e64 v9, v9, v17, s[2:3]
	;; [unrolled: 1-line block ×3, first 2 shown]
	v_sub_u32_e32 v16, 32, v2
	v_alignbit_b32 v17, v9, v15, v16
	v_cmp_eq_u32_e64 s[4:5], 0, v2
	v_cndmask_b32_e64 v2, v17, v9, s[4:5]
	v_cndmask_b32_e32 v9, v13, v11, vcc
	v_cndmask_b32_e64 v10, v10, v9, s[0:1]
	v_cndmask_b32_e64 v11, v14, v10, s[2:3]
	v_alignbit_b32 v13, v15, v11, v16
	v_cndmask_b32_e32 v8, v12, v8, vcc
	v_cndmask_b32_e64 v13, v13, v15, s[4:5]
	v_bfe_u32 v17, v2, 29, 1
	v_cndmask_b32_e64 v8, v9, v8, s[0:1]
	v_alignbit_b32 v14, v2, v13, 30
	v_sub_u32_e32 v18, 0, v17
	v_cndmask_b32_e64 v8, v10, v8, s[2:3]
	v_xor_b32_e32 v14, v14, v18
	v_alignbit_b32 v9, v11, v8, v16
	v_cndmask_b32_e64 v9, v9, v11, s[4:5]
	v_ffbh_u32_e32 v11, v14
	v_alignbit_b32 v10, v13, v9, 30
	v_min_u32_e32 v11, 32, v11
	v_alignbit_b32 v8, v9, v8, 30
	v_xor_b32_e32 v10, v10, v18
	v_sub_u32_e32 v12, 31, v11
	v_xor_b32_e32 v8, v8, v18
	v_alignbit_b32 v13, v14, v10, v12
	v_alignbit_b32 v8, v10, v8, v12
	;; [unrolled: 1-line block ×3, first 2 shown]
	v_ffbh_u32_e32 v10, v9
	v_min_u32_e32 v10, 32, v10
	v_lshrrev_b32_e32 v15, 29, v2
	v_not_b32_e32 v12, v10
	v_alignbit_b32 v8, v9, v8, v12
	v_lshlrev_b32_e32 v9, 31, v15
	v_or_b32_e32 v12, 0x33000000, v9
	v_add_lshl_u32 v10, v10, v11, 23
	v_lshrrev_b32_e32 v8, 9, v8
	v_sub_u32_e32 v10, v12, v10
	v_or_b32_e32 v9, 0.5, v9
	v_lshlrev_b32_e32 v11, 23, v11
	v_or_b32_e32 v8, v10, v8
	v_lshrrev_b32_e32 v10, 9, v13
	v_sub_u32_e32 v9, v9, v11
	v_or_b32_e32 v9, v10, v9
	s_mov_b32 s0, 0x3fc90fda
	v_mul_f32_e32 v10, 0x3fc90fda, v9
	v_fma_f32 v11, v9, s0, -v10
	v_fmac_f32_e32 v11, 0x33a22168, v9
	v_fmac_f32_e32 v11, 0x3fc90fda, v8
	v_lshrrev_b32_e32 v2, 30, v2
	v_add_f32_e32 v8, v10, v11
	v_add_u32_e32 v9, v17, v2
	s_andn2_saveexec_b64 s[0:1], s[6:7]
	s_cbranch_execnz .LBB9_42
	s_branch .LBB9_43
.LBB9_41:
	s_andn2_saveexec_b64 s[0:1], s[6:7]
	s_cbranch_execz .LBB9_43
.LBB9_42:
	s_mov_b32 s2, 0x3f22f983
	v_mul_f32_e64 v2, |v3|, s2
	v_rndne_f32_e32 v2, v2
	s_mov_b32 s2, 0xbfc90fda
	v_cvt_i32_f32_e32 v9, v2
	v_fma_f32 v8, v2, s2, |v3|
	v_fmac_f32_e32 v8, 0xb3a22168, v2
	v_fmac_f32_e32 v8, 0xa7c234c4, v2
.LBB9_43:
	s_or_b64 exec, exec, s[0:1]
	v_ashrrev_i32_e32 v2, 31, v1
	s_lshr_b32 s0, s25, 31
	v_lshlrev_b64 v[1:2], 1, v[1:2]
	s_add_i32 s0, s25, s0
	s_ashr_i32 s0, s0, 1
	v_mov_b32_e32 v10, s17
	v_add_co_u32_e32 v1, vcc, s16, v1
	s_ashr_i32 s1, s0, 31
	v_addc_co_u32_e32 v2, vcc, v10, v2, vcc
	s_lshl_b64 s[0:1], s[0:1], 1
	global_load_ushort v10, v[1:2], off
	v_mov_b32_e32 v11, s1
	v_add_co_u32_e32 v1, vcc, s0, v1
	v_addc_co_u32_e32 v2, vcc, v2, v11, vcc
	global_load_ushort v2, v[1:2], off
	v_ashrrev_i32_e32 v1, 31, v0
	v_lshlrev_b64 v[0:1], 1, v[0:1]
	v_mov_b32_e32 v17, s19
	v_add_co_u32_e32 v0, vcc, s18, v0
	v_mul_f32_e32 v12, v6, v6
	v_mov_b32_e32 v16, 0xbab64f3b
	v_addc_co_u32_e32 v1, vcc, v17, v1, vcc
	v_mov_b32_e32 v17, 0xbab64f3b
	v_mul_f32_e32 v19, v8, v8
	v_mov_b32_e32 v13, 0x3c0881c4
	v_mov_b32_e32 v14, 0x3c0881c4
	;; [unrolled: 1-line block ×3, first 2 shown]
	v_fmac_f32_e32 v17, 0x37d75334, v12
	v_fmac_f32_e32 v16, 0x37d75334, v19
	v_mov_b32_e32 v15, 0xbe2aaa9d
	v_fmac_f32_e32 v14, 0xb94c1982, v12
	v_fmac_f32_e32 v13, 0xb94c1982, v19
	v_fma_f32 v17, v12, v17, v18
	v_fmac_f32_e32 v18, v19, v16
	v_lshlrev_b32_e32 v16, 30, v9
	v_fma_f32 v14, v12, v14, v15
	v_fmac_f32_e32 v15, v19, v13
	v_mov_b32_e32 v13, 0xbf000004
	v_xor_b32_e32 v5, v5, v3
	v_and_b32_e32 v16, 0x80000000, v16
	v_xor_b32_e32 v5, v5, v16
	v_and_b32_e32 v16, 1, v7
	v_fma_f32 v17, v12, v17, v13
	v_mul_f32_e32 v14, v12, v14
	v_fmac_f32_e32 v13, v19, v18
	v_and_b32_e32 v9, 1, v9
	v_mul_f32_e32 v15, v19, v15
	v_fmac_f32_e32 v6, v6, v14
	v_fma_f32 v12, v12, v17, 1.0
	v_cmp_eq_u32_e32 vcc, 0, v16
	v_fmac_f32_e32 v8, v8, v15
	v_fma_f32 v13, v19, v13, 1.0
	v_cndmask_b32_e64 v6, -v6, v12, vcc
	v_cmp_eq_u32_e32 vcc, 0, v9
	v_lshlrev_b32_e32 v7, 30, v7
	v_cndmask_b32_e32 v8, v13, v8, vcc
	v_and_b32_e32 v7, 0x80000000, v7
	v_xor_b32_e32 v8, v5, v8
	v_add_co_u32_e32 v5, vcc, s0, v0
	s_movk_i32 s1, 0x1f8
	v_xor_b32_e32 v7, v7, v6
	v_addc_co_u32_e32 v6, vcc, v1, v11, vcc
	v_mov_b32_e32 v18, 0x7fc00000
	v_cmp_class_f32_e64 vcc, v3, s1
	v_cndmask_b32_e32 v3, v18, v7, vcc
	v_cndmask_b32_e32 v7, v18, v8, vcc
	v_mul_f32_e32 v3, v4, v3
	v_mul_f32_e32 v4, v4, v7
	s_waitcnt vmcnt(1)
	v_cvt_f32_f16_e32 v8, v10
	v_mul_f32_e32 v7, v4, v8
	s_waitcnt vmcnt(0)
	v_cvt_f32_f16_e32 v9, v2
	v_fma_mixlo_f16 v2, v3, v2, v7 op_sel_hi:[0,1,0]
	v_mul_f32_e32 v4, v4, v9
	v_fma_mixlo_f16 v3, v3, v10, -v4 op_sel_hi:[0,1,0]
	global_store_short v[0:1], v3, off
	global_store_short v[5:6], v2, off
.LBB9_44:
	s_endpgm
	.section	.rodata,"a",@progbits
	.p2align	6, 0x0
	.amdhsa_kernel _ZL10rope_multiILb1ELb1E6__halfEvPKT1_PS1_iiiiiiiiiiPKifff14rope_corr_dimsfPKf14mrope_sectionsb
		.amdhsa_group_segment_fixed_size 0
		.amdhsa_private_segment_fixed_size 0
		.amdhsa_kernarg_size 376
		.amdhsa_user_sgpr_count 6
		.amdhsa_user_sgpr_private_segment_buffer 1
		.amdhsa_user_sgpr_dispatch_ptr 0
		.amdhsa_user_sgpr_queue_ptr 0
		.amdhsa_user_sgpr_kernarg_segment_ptr 1
		.amdhsa_user_sgpr_dispatch_id 0
		.amdhsa_user_sgpr_flat_scratch_init 0
		.amdhsa_user_sgpr_private_segment_size 0
		.amdhsa_uses_dynamic_stack 0
		.amdhsa_system_sgpr_private_segment_wavefront_offset 0
		.amdhsa_system_sgpr_workgroup_id_x 1
		.amdhsa_system_sgpr_workgroup_id_y 1
		.amdhsa_system_sgpr_workgroup_id_z 0
		.amdhsa_system_sgpr_workgroup_info 0
		.amdhsa_system_vgpr_workitem_id 1
		.amdhsa_next_free_vgpr 21
		.amdhsa_next_free_sgpr 36
		.amdhsa_reserve_vcc 1
		.amdhsa_reserve_flat_scratch 0
		.amdhsa_float_round_mode_32 0
		.amdhsa_float_round_mode_16_64 0
		.amdhsa_float_denorm_mode_32 3
		.amdhsa_float_denorm_mode_16_64 3
		.amdhsa_dx10_clamp 1
		.amdhsa_ieee_mode 1
		.amdhsa_fp16_overflow 0
		.amdhsa_exception_fp_ieee_invalid_op 0
		.amdhsa_exception_fp_denorm_src 0
		.amdhsa_exception_fp_ieee_div_zero 0
		.amdhsa_exception_fp_ieee_overflow 0
		.amdhsa_exception_fp_ieee_underflow 0
		.amdhsa_exception_fp_ieee_inexact 0
		.amdhsa_exception_int_div_zero 0
	.end_amdhsa_kernel
	.section	.text._ZL10rope_multiILb1ELb1E6__halfEvPKT1_PS1_iiiiiiiiiiPKifff14rope_corr_dimsfPKf14mrope_sectionsb,"axG",@progbits,_ZL10rope_multiILb1ELb1E6__halfEvPKT1_PS1_iiiiiiiiiiPKifff14rope_corr_dimsfPKf14mrope_sectionsb,comdat
.Lfunc_end9:
	.size	_ZL10rope_multiILb1ELb1E6__halfEvPKT1_PS1_iiiiiiiiiiPKifff14rope_corr_dimsfPKf14mrope_sectionsb, .Lfunc_end9-_ZL10rope_multiILb1ELb1E6__halfEvPKT1_PS1_iiiiiiiiiiPKifff14rope_corr_dimsfPKf14mrope_sectionsb
                                        ; -- End function
	.set _ZL10rope_multiILb1ELb1E6__halfEvPKT1_PS1_iiiiiiiiiiPKifff14rope_corr_dimsfPKf14mrope_sectionsb.num_vgpr, 21
	.set _ZL10rope_multiILb1ELb1E6__halfEvPKT1_PS1_iiiiiiiiiiPKifff14rope_corr_dimsfPKf14mrope_sectionsb.num_agpr, 0
	.set _ZL10rope_multiILb1ELb1E6__halfEvPKT1_PS1_iiiiiiiiiiPKifff14rope_corr_dimsfPKf14mrope_sectionsb.numbered_sgpr, 36
	.set _ZL10rope_multiILb1ELb1E6__halfEvPKT1_PS1_iiiiiiiiiiPKifff14rope_corr_dimsfPKf14mrope_sectionsb.num_named_barrier, 0
	.set _ZL10rope_multiILb1ELb1E6__halfEvPKT1_PS1_iiiiiiiiiiPKifff14rope_corr_dimsfPKf14mrope_sectionsb.private_seg_size, 0
	.set _ZL10rope_multiILb1ELb1E6__halfEvPKT1_PS1_iiiiiiiiiiPKifff14rope_corr_dimsfPKf14mrope_sectionsb.uses_vcc, 1
	.set _ZL10rope_multiILb1ELb1E6__halfEvPKT1_PS1_iiiiiiiiiiPKifff14rope_corr_dimsfPKf14mrope_sectionsb.uses_flat_scratch, 0
	.set _ZL10rope_multiILb1ELb1E6__halfEvPKT1_PS1_iiiiiiiiiiPKifff14rope_corr_dimsfPKf14mrope_sectionsb.has_dyn_sized_stack, 0
	.set _ZL10rope_multiILb1ELb1E6__halfEvPKT1_PS1_iiiiiiiiiiPKifff14rope_corr_dimsfPKf14mrope_sectionsb.has_recursion, 0
	.set _ZL10rope_multiILb1ELb1E6__halfEvPKT1_PS1_iiiiiiiiiiPKifff14rope_corr_dimsfPKf14mrope_sectionsb.has_indirect_call, 0
	.section	.AMDGPU.csdata,"",@progbits
; Kernel info:
; codeLenInByte = 10280
; TotalNumSgprs: 40
; NumVgprs: 21
; ScratchSize: 0
; MemoryBound: 0
; FloatMode: 240
; IeeeMode: 1
; LDSByteSize: 0 bytes/workgroup (compile time only)
; SGPRBlocks: 4
; VGPRBlocks: 5
; NumSGPRsForWavesPerEU: 40
; NumVGPRsForWavesPerEU: 21
; Occupancy: 10
; WaveLimiterHint : 0
; COMPUTE_PGM_RSRC2:SCRATCH_EN: 0
; COMPUTE_PGM_RSRC2:USER_SGPR: 6
; COMPUTE_PGM_RSRC2:TRAP_HANDLER: 0
; COMPUTE_PGM_RSRC2:TGID_X_EN: 1
; COMPUTE_PGM_RSRC2:TGID_Y_EN: 1
; COMPUTE_PGM_RSRC2:TGID_Z_EN: 0
; COMPUTE_PGM_RSRC2:TIDIG_COMP_CNT: 1
	.section	.text._ZL11rope_visionILb1ELb0EfEvPKT1_PS0_iiiiiiiiiiPKifff14rope_corr_dimsfPKf14mrope_sections,"axG",@progbits,_ZL11rope_visionILb1ELb0EfEvPKT1_PS0_iiiiiiiiiiPKifff14rope_corr_dimsfPKf14mrope_sections,comdat
	.globl	_ZL11rope_visionILb1ELb0EfEvPKT1_PS0_iiiiiiiiiiPKifff14rope_corr_dimsfPKf14mrope_sections ; -- Begin function _ZL11rope_visionILb1ELb0EfEvPKT1_PS0_iiiiiiiiiiPKifff14rope_corr_dimsfPKf14mrope_sections
	.p2align	8
	.type	_ZL11rope_visionILb1ELb0EfEvPKT1_PS0_iiiiiiiiiiPKifff14rope_corr_dimsfPKf14mrope_sections,@function
_ZL11rope_visionILb1ELb0EfEvPKT1_PS0_iiiiiiiiiiPKifff14rope_corr_dimsfPKf14mrope_sections: ; @_ZL11rope_visionILb1ELb0EfEvPKT1_PS0_iiiiiiiiiiPKifff14rope_corr_dimsfPKf14mrope_sections
; %bb.0:
	s_load_dword s0, s[4:5], 0x7c
	s_load_dwordx8 s[8:15], s[4:5], 0x10
	s_add_u32 s2, s4, 0x70
	s_addc_u32 s3, s5, 0
	s_waitcnt lgkmcnt(0)
	s_lshr_b32 s0, s0, 16
	s_mul_i32 s7, s7, s0
	v_add_lshl_u32 v1, s7, v1, 1
	v_cmp_gt_i32_e32 vcc, s8, v1
	s_and_saveexec_b64 s[0:1], vcc
	s_cbranch_execz .LBB10_20
; %bb.1:
	s_mul_i32 s7, s10, s9
	s_abs_i32 s8, s7
	v_cvt_f32_u32_e32 v2, s8
	s_load_dwordx2 s[0:1], s[4:5], 0x60
	s_load_dword s16, s[2:3], 0xc
	s_sub_i32 s3, 0, s8
	v_cvt_f32_u32_e32 v3, s9
	v_rcp_iflag_f32_e32 v2, v2
	s_sub_i32 s2, 0, s9
	s_waitcnt lgkmcnt(0)
	s_add_i32 s1, s1, s0
	v_rcp_iflag_f32_e32 v3, v3
	v_mul_f32_e32 v2, 0x4f7ffffe, v2
	v_cvt_u32_f32_e32 v2, v2
	s_mov_b64 s[24:25], -1
	v_mul_f32_e32 v3, 0x4f7ffffe, v3
	v_mul_lo_u32 v4, s3, v2
	s_and_b32 s3, s16, 0xffff
	s_mul_i32 s6, s6, s3
	v_add_u32_e32 v0, s6, v0
	v_mul_hi_u32 v4, v2, v4
	v_sub_u32_e32 v5, 0, v0
	v_max_i32_e32 v5, v0, v5
	s_load_dwordx2 s[20:21], s[4:5], 0x30
	s_load_dwordx4 s[16:19], s[4:5], 0x40
	v_add_u32_e32 v2, v2, v4
	v_mul_hi_u32 v2, v5, v2
	v_cvt_u32_f32_e32 v4, v3
	v_xor_b32_e32 v3, s7, v0
	v_ashrrev_i32_e32 v3, 31, v3
	v_mul_lo_u32 v6, v2, s8
	v_add_u32_e32 v8, 1, v2
	v_mul_lo_u32 v7, s2, v4
	s_abs_i32 s2, s1
	v_sub_u32_e32 v5, v5, v6
	v_cmp_le_u32_e32 vcc, s8, v5
	v_subrev_u32_e32 v6, s8, v5
	v_cndmask_b32_e32 v2, v2, v8, vcc
	v_cndmask_b32_e32 v5, v5, v6, vcc
	v_add_u32_e32 v6, 1, v2
	v_cmp_le_u32_e32 vcc, s8, v5
	v_cndmask_b32_e32 v2, v2, v6, vcc
	v_xor_b32_e32 v2, v2, v3
	v_sub_u32_e32 v3, v2, v3
	v_mul_lo_u32 v2, s7, v3
	v_mul_hi_u32 v6, v4, v7
	v_cvt_f32_u32_e32 v7, s2
	s_sub_i32 s3, 0, s2
	v_sub_u32_e32 v5, v0, v2
	v_add_u32_e32 v0, v4, v6
	v_rcp_iflag_f32_e32 v2, v7
	v_mul_hi_u32 v0, v5, v0
	s_load_dwordx2 s[6:7], s[4:5], 0x50
	v_mul_f32_e32 v2, 0x4f7ffffe, v2
	v_cvt_u32_f32_e32 v2, v2
	v_mul_lo_u32 v4, v0, s9
	v_add_u32_e32 v7, 1, v0
	v_mul_lo_u32 v6, s3, v2
	v_sub_u32_e32 v4, v5, v4
	v_cmp_le_u32_e32 vcc, s9, v4
	v_cndmask_b32_e32 v7, v0, v7, vcc
	v_mul_hi_u32 v6, v2, v6
	v_ashrrev_i32_e32 v0, 1, v1
	v_sub_u32_e32 v8, 0, v0
	v_max_i32_e32 v8, v0, v8
	v_add_u32_e32 v2, v2, v6
	v_mul_hi_u32 v2, v8, v2
	v_subrev_u32_e32 v6, s9, v4
	v_cndmask_b32_e32 v4, v4, v6, vcc
	v_add_u32_e32 v6, 1, v7
	v_mul_lo_u32 v2, v2, s2
	v_cmp_le_u32_e32 vcc, s9, v4
	v_cndmask_b32_e32 v4, v7, v6, vcc
	v_ashrrev_i32_e32 v1, 31, v1
	v_sub_u32_e32 v2, v8, v2
	v_subrev_u32_e32 v6, s2, v2
	v_cmp_le_u32_e32 vcc, s2, v2
	v_cndmask_b32_e32 v2, v2, v6, vcc
	v_subrev_u32_e32 v6, s2, v2
	v_cmp_le_u32_e32 vcc, s2, v2
	v_cndmask_b32_e32 v2, v2, v6, vcc
	v_xor_b32_e32 v2, v2, v1
	v_sub_u32_e32 v7, v2, v1
	v_cmp_le_i32_e32 vcc, s0, v7
	v_mov_b32_e32 v1, v4
	s_and_saveexec_b64 s[2:3], vcc
	s_cbranch_execz .LBB10_6
; %bb.2:
	s_cmp_gt_i32 s1, -1
	s_cbranch_scc0 .LBB10_4
; %bb.3:
	v_subrev_u32_e32 v7, s0, v7
	v_add_u32_e32 v1, s10, v4
	s_mov_b64 s[0:1], -1
	s_branch .LBB10_5
.LBB10_4:
	s_mov_b64 s[0:1], 0
                                        ; implicit-def: $vgpr7
                                        ; implicit-def: $vgpr1
.LBB10_5:
	s_orn2_b64 s[24:25], s[0:1], exec
.LBB10_6:
	s_or_b64 exec, exec, s[2:3]
	v_mov_b32_e32 v6, 0
	s_and_saveexec_b64 s[22:23], s[24:25]
	s_cbranch_execz .LBB10_8
; %bb.7:
	s_load_dwordx2 s[0:1], s[4:5], 0x38
	v_mov_b32_e32 v2, 0
	v_lshlrev_b64 v[1:2], 2, v[1:2]
	v_mov_b32_e32 v9, 0x3e91f4c4
	v_mov_b32_e32 v10, 0x3ecccdef
	s_waitcnt lgkmcnt(0)
	v_mov_b32_e32 v6, s1
	v_add_co_u32_e32 v1, vcc, s0, v1
	v_addc_co_u32_e32 v2, vcc, v6, v2, vcc
	global_load_dword v6, v[1:2], off
	v_cvt_f32_i32_e32 v1, v7
	v_cmp_neq_f32_e64 vcc, s7, 1.0
	v_mov_b32_e32 v7, s7
	s_mov_b32 s0, 0x3f2aaaab
	v_cndmask_b32_e32 v2, 1.0, v1, vcc
	v_cmp_neq_f32_e32 vcc, 0, v2
	v_cndmask_b32_e32 v1, 1.0, v7, vcc
	v_frexp_mant_f32_e64 v11, |v1|
	v_cmp_gt_f32_e32 vcc, s0, v11
	v_cvt_f64_f32_e64 v[7:8], |v1|
	v_cndmask_b32_e64 v12, 1.0, 2.0, vcc
	v_mul_f32_e32 v11, v11, v12
	v_add_f32_e32 v13, 1.0, v11
	v_rcp_f32_e32 v14, v13
	v_frexp_exp_i32_f64_e32 v7, v[7:8]
	v_add_f32_e32 v12, -1.0, v11
	v_add_f32_e32 v15, -1.0, v13
	v_sub_f32_e32 v8, v11, v15
	v_mul_f32_e32 v11, v12, v14
	v_mul_f32_e32 v15, v13, v11
	v_fma_f32 v13, v11, v13, -v15
	v_fmac_f32_e32 v13, v11, v8
	v_add_f32_e32 v8, v15, v13
	v_subbrev_co_u32_e32 v7, vcc, 0, v7, vcc
	v_sub_f32_e32 v16, v12, v8
	v_sub_f32_e32 v15, v8, v15
	v_cvt_f32_i32_e32 v7, v7
	v_sub_f32_e32 v12, v12, v16
	v_sub_f32_e32 v13, v15, v13
	;; [unrolled: 1-line block ×3, first 2 shown]
	v_add_f32_e32 v8, v13, v8
	v_add_f32_e32 v8, v16, v8
	s_mov_b32 s1, 0x3f317218
	v_mul_f32_e32 v12, 0x3f317218, v7
	v_mul_f32_e32 v8, v14, v8
	v_fma_f32 v13, v7, s1, -v12
	v_add_f32_e32 v14, v11, v8
	v_fmac_f32_e32 v13, 0xb102e308, v7
	v_sub_f32_e32 v7, v14, v11
	v_mul_f32_e32 v11, v14, v14
	v_sub_f32_e32 v7, v8, v7
	v_fma_f32 v8, v14, v14, -v11
	v_add_f32_e32 v15, v7, v7
	v_fmac_f32_e32 v8, v14, v15
	v_add_f32_e32 v15, v11, v8
	v_fmac_f32_e32 v9, 0x3e76c4e1, v15
	v_mul_f32_e32 v17, v14, v15
	v_sub_f32_e32 v11, v15, v11
	v_fmac_f32_e32 v10, v15, v9
	v_fma_f32 v9, v15, v14, -v17
	v_ldexp_f32 v16, v7, 1
	v_sub_f32_e32 v8, v8, v11
	v_fmac_f32_e32 v9, v15, v7
	v_mul_f32_e32 v7, v15, v10
	v_fmac_f32_e32 v9, v8, v14
	v_fma_f32 v11, v15, v10, -v7
	v_add_f32_e32 v15, v17, v9
	v_fmac_f32_e32 v11, v8, v10
	v_sub_f32_e32 v8, v15, v17
	v_add_f32_e32 v10, v7, v11
	v_sub_f32_e32 v8, v9, v8
	v_add_f32_e32 v9, 0x3f2aaaaa, v10
	v_sub_f32_e32 v7, v10, v7
	v_sub_f32_e32 v7, v11, v7
	v_add_f32_e32 v11, 0xbf2aaaaa, v9
	v_add_f32_e32 v7, 0x31739010, v7
	v_sub_f32_e32 v10, v10, v11
	v_add_f32_e32 v7, v7, v10
	v_add_f32_e32 v10, v9, v7
	v_sub_f32_e32 v9, v9, v10
	v_mul_f32_e32 v11, v15, v10
	v_add_f32_e32 v7, v7, v9
	v_fma_f32 v9, v15, v10, -v11
	v_fmac_f32_e32 v9, v15, v7
	v_fmac_f32_e32 v9, v8, v10
	v_add_f32_e32 v8, v12, v13
	v_sub_f32_e32 v10, v8, v12
	v_add_f32_e32 v12, v11, v9
	v_ldexp_f32 v7, v14, 1
	v_sub_f32_e32 v11, v12, v11
	v_sub_f32_e32 v9, v9, v11
	v_add_f32_e32 v11, v7, v12
	v_sub_f32_e32 v7, v11, v7
	v_sub_f32_e32 v7, v12, v7
	v_add_f32_e32 v9, v16, v9
	v_add_f32_e32 v7, v9, v7
	;; [unrolled: 1-line block ×3, first 2 shown]
	v_sub_f32_e32 v11, v9, v11
	v_sub_f32_e32 v7, v7, v11
	v_add_f32_e32 v11, v8, v9
	v_sub_f32_e32 v12, v11, v8
	v_sub_f32_e32 v10, v13, v10
	;; [unrolled: 1-line block ×5, first 2 shown]
	v_add_f32_e32 v8, v9, v8
	v_add_f32_e32 v9, v10, v7
	v_sub_f32_e32 v12, v9, v10
	v_sub_f32_e32 v13, v9, v12
	v_add_f32_e32 v8, v9, v8
	v_sub_f32_e32 v10, v10, v13
	v_sub_f32_e32 v7, v7, v12
	v_add_f32_e32 v9, v11, v8
	v_add_f32_e32 v7, v7, v10
	v_sub_f32_e32 v10, v9, v11
	v_sub_f32_e32 v8, v8, v10
	v_add_f32_e32 v7, v7, v8
	v_add_f32_e32 v8, v9, v7
	v_sub_f32_e32 v9, v8, v9
	v_sub_f32_e32 v7, v7, v9
	v_mul_f32_e32 v9, v2, v8
	v_fma_f32 v8, v2, v8, -v9
	v_fmac_f32_e32 v8, v2, v7
	s_movk_i32 s2, 0x204
	v_add_f32_e32 v7, v9, v8
	v_cmp_class_f32_e64 vcc, v9, s2
	v_sub_f32_e32 v10, v7, v9
	v_cndmask_b32_e32 v7, v7, v9, vcc
	s_mov_b32 s1, 0x42b17218
	v_mov_b32_e32 v9, 0x37000000
	v_cmp_eq_f32_e32 vcc, s1, v7
	v_cndmask_b32_e32 v9, 0, v9, vcc
	v_sub_f32_e32 v8, v8, v10
	v_sub_f32_e32 v10, v7, v9
	s_mov_b32 s3, 0x3fb8aa3b
	v_mul_f32_e32 v11, 0x3fb8aa3b, v10
	v_fma_f32 v12, v10, s3, -v11
	v_rndne_f32_e32 v13, v11
	v_fmac_f32_e32 v12, 0x32a5705f, v10
	v_sub_f32_e32 v11, v11, v13
	v_add_f32_e32 v11, v11, v12
	v_exp_f32_e32 v11, v11
	v_cvt_i32_f32_e32 v12, v13
	s_mov_b32 s0, 0x7f800000
	v_cmp_neq_f32_e64 vcc, |v7|, s0
	s_mov_b32 s0, 0xc2ce8ed0
	v_cndmask_b32_e32 v7, 0, v8, vcc
	v_ldexp_f32 v8, v11, v12
	v_cmp_ngt_f32_e32 vcc, s0, v10
	v_add_f32_e32 v7, v9, v7
	v_cndmask_b32_e32 v8, 0, v8, vcc
	v_mov_b32_e32 v9, 0x7f800000
	v_cmp_nlt_f32_e32 vcc, s1, v10
	v_cndmask_b32_e32 v8, v9, v8, vcc
	v_fma_f32 v7, v8, v7, v8
	v_cmp_class_f32_e64 vcc, v8, s2
	v_cndmask_b32_e32 v7, v7, v8, vcc
	v_trunc_f32_e32 v8, v2
	v_cmp_eq_f32_e32 vcc, v8, v2
	v_mul_f32_e32 v8, 0.5, v2
	v_trunc_f32_e32 v11, v8
	v_cmp_neq_f32_e64 s[0:1], v11, v8
	s_and_b64 s[0:1], vcc, s[0:1]
	v_cndmask_b32_e64 v8, 1.0, v1, s[0:1]
	s_brev_b32 s7, -2
	v_mov_b32_e32 v10, 0x7fc00000
	v_bfi_b32 v7, s7, v7, v8
	v_cndmask_b32_e32 v8, v10, v7, vcc
	v_cmp_gt_f32_e32 vcc, 0, v1
	v_cndmask_b32_e32 v7, v7, v8, vcc
	v_cmp_class_f32_e64 s[24:25], v1, s2
	v_cmp_eq_f32_e32 vcc, 0, v1
	v_cmp_gt_f32_e64 s[2:3], 0, v2
	s_xor_b64 s[2:3], s[2:3], vcc
	s_waitcnt vmcnt(0)
	v_cvt_f32_i32_e32 v6, v6
	v_cndmask_b32_e64 v2, v9, 0, s[2:3]
	v_cndmask_b32_e64 v8, 0, v1, s[0:1]
	v_bfi_b32 v2, s7, v2, v8
	s_or_b64 vcc, vcc, s[24:25]
	v_cndmask_b32_e32 v2, v7, v2, vcc
	v_cmp_o_f32_e32 vcc, v1, v1
	v_cndmask_b32_e32 v1, v10, v2, vcc
	v_mul_f32_e32 v6, v1, v6
.LBB10_8:
	s_or_b64 exec, exec, s[22:23]
	s_waitcnt lgkmcnt(0)
	v_cmp_eq_f32_e64 s[0:1], s17, 0
	v_mul_f32_e32 v1, s16, v6
	s_and_b64 vcc, exec, s[0:1]
	s_cbranch_vccnz .LBB10_10
; %bb.9:
	v_cvt_f32_i32_e32 v2, v0
	v_div_scale_f32 v8, s[0:1], s16, s16, 1.0
	v_mov_b32_e32 v7, s19
	v_sub_f32_e32 v7, s6, v7
	v_subrev_f32_e32 v2, s19, v2
	v_max_f32_e32 v7, 0x3a83126f, v7
	v_div_scale_f32 v9, s[0:1], v7, v7, v2
	v_div_scale_f32 v10, s[0:1], 1.0, s16, 1.0
	v_div_scale_f32 v11, vcc, v2, v7, v2
	s_mov_b32 s2, 0x3f317217
	s_mov_b32 s3, 0x7f800000
	v_rcp_f32_e32 v12, v8
	v_fma_f32 v13, -v8, v12, 1.0
	v_fmac_f32_e32 v12, v13, v12
	v_rcp_f32_e32 v14, v9
	v_mul_f32_e32 v13, v10, v12
	v_fma_f32 v15, -v8, v13, v10
	v_fmac_f32_e32 v13, v15, v12
	v_fma_f32 v15, -v9, v14, 1.0
	v_fmac_f32_e32 v14, v15, v14
	v_fma_f32 v8, -v8, v13, v10
	v_mul_f32_e32 v10, v11, v14
	v_fma_f32 v15, -v9, v10, v11
	v_fmac_f32_e32 v10, v15, v14
	v_fma_f32 v9, -v9, v10, v11
	v_div_fmas_f32 v9, v9, v14, v10
	s_mov_b64 vcc, s[0:1]
	v_div_fmas_f32 v8, v8, v12, v13
	s_mov_b32 s0, 0x800000
	v_mov_b32_e32 v10, 0x41b17218
	v_div_fixup_f32 v2, v9, v7, v2 clamp
	v_sub_f32_e32 v2, 1.0, v2
	v_div_fixup_f32 v7, v8, s16, 1.0
	v_cmp_gt_f32_e32 vcc, s0, v7
	s_and_b64 s[0:1], vcc, exec
	s_cselect_b32 s0, 32, 0
	v_ldexp_f32 v7, v7, s0
	v_log_f32_e32 v7, v7
	v_mul_f32_e32 v8, s17, v2
	v_fma_f32 v2, -s17, v2, 1.0
	v_mul_f32_e32 v1, v2, v1
	v_mul_f32_e32 v2, 0x3f317217, v7
	v_fma_f32 v2, v7, s2, -v2
	v_fmac_f32_e32 v2, 0x3377d1cf, v7
	v_cndmask_b32_e32 v9, 0, v10, vcc
	v_fmac_f32_e32 v2, 0x3f317217, v7
	v_cmp_lt_f32_e64 vcc, |v7|, s3
	v_cndmask_b32_e32 v2, v7, v2, vcc
	v_sub_f32_e32 v2, v2, v9
	s_mov_b32 s0, 0x3dcccccd
	v_fma_f32 v2, v2, s0, 1.0
	v_fmac_f32_e32 v1, v8, v6
	v_mul_f32_e32 v2, s18, v2
	s_branch .LBB10_11
.LBB10_10:
	v_mov_b32_e32 v2, s18
.LBB10_11:
	v_and_b32_e32 v6, 0x7fffffff, v1
	s_brev_b32 s0, 18
	v_cmp_nlt_f32_e64 s[16:17], |v1|, s0
	v_lshrrev_b32_e32 v9, 23, v6
                                        ; implicit-def: $vgpr8
                                        ; implicit-def: $vgpr7
	s_and_saveexec_b64 s[0:1], s[16:17]
	s_xor_b64 s[18:19], exec, s[0:1]
	s_cbranch_execz .LBB10_13
; %bb.12:
	v_and_b32_e32 v7, 0x7fffff, v6
	v_or_b32_e32 v18, 0x800000, v7
	s_mov_b32 s0, 0xfe5163ab
	v_mad_u64_u32 v[7:8], s[0:1], v18, s0, 0
	v_mov_b32_e32 v11, 0
	s_mov_b32 s0, 0x3c439041
	v_mov_b32_e32 v10, v8
	v_mad_u64_u32 v[12:13], s[0:1], v18, s0, v[10:11]
	s_mov_b32 s0, 0xdb629599
	v_add_u32_e32 v8, 0xffffff88, v9
	v_mov_b32_e32 v10, v13
	v_mad_u64_u32 v[13:14], s[0:1], v18, s0, v[10:11]
	s_mov_b32 s0, 0xf534ddc0
	v_not_b32_e32 v17, 63
	v_mov_b32_e32 v10, v14
	v_mad_u64_u32 v[14:15], s[0:1], v18, s0, v[10:11]
	s_mov_b32 s0, 0xfc2757d1
	v_cmp_lt_u32_e32 vcc, 63, v8
	v_mov_b32_e32 v10, v15
	v_mad_u64_u32 v[15:16], s[0:1], v18, s0, v[10:11]
	v_cndmask_b32_e32 v10, 0, v17, vcc
	v_add_u32_e32 v8, v10, v8
	v_mov_b32_e32 v10, v16
	s_mov_b32 s0, 0x4e441529
	v_mad_u64_u32 v[16:17], s[0:1], v18, s0, v[10:11]
	v_not_b32_e32 v19, 31
	v_cmp_lt_u32_e64 s[0:1], 31, v8
	v_cndmask_b32_e64 v10, 0, v19, s[0:1]
	v_add_u32_e32 v8, v10, v8
	v_mov_b32_e32 v10, v17
	s_mov_b32 s2, 0xa2f9836e
	v_mad_u64_u32 v[10:11], s[2:3], v18, s2, v[10:11]
	v_cmp_lt_u32_e64 s[2:3], 31, v8
	v_cndmask_b32_e64 v17, 0, v19, s[2:3]
	v_add_u32_e32 v8, v17, v8
	v_cndmask_b32_e32 v17, v16, v14, vcc
	v_cndmask_b32_e32 v10, v10, v15, vcc
	;; [unrolled: 1-line block ×3, first 2 shown]
	v_cndmask_b32_e64 v18, v10, v17, s[0:1]
	v_cndmask_b32_e64 v10, v11, v10, s[0:1]
	v_cndmask_b32_e32 v11, v15, v13, vcc
	v_cndmask_b32_e64 v15, v17, v11, s[0:1]
	v_cndmask_b32_e64 v10, v10, v18, s[2:3]
	;; [unrolled: 1-line block ×3, first 2 shown]
	v_sub_u32_e32 v17, 32, v8
	v_alignbit_b32 v18, v10, v16, v17
	v_cmp_eq_u32_e64 s[6:7], 0, v8
	v_cndmask_b32_e64 v8, v18, v10, s[6:7]
	v_cndmask_b32_e32 v10, v14, v12, vcc
	v_cndmask_b32_e64 v11, v11, v10, s[0:1]
	v_cndmask_b32_e64 v12, v15, v11, s[2:3]
	v_alignbit_b32 v14, v16, v12, v17
	v_cndmask_b32_e32 v7, v13, v7, vcc
	v_cndmask_b32_e64 v14, v14, v16, s[6:7]
	v_bfe_u32 v18, v8, 29, 1
	v_cndmask_b32_e64 v7, v10, v7, s[0:1]
	v_alignbit_b32 v15, v8, v14, 30
	v_sub_u32_e32 v19, 0, v18
	v_cndmask_b32_e64 v7, v11, v7, s[2:3]
	v_xor_b32_e32 v15, v15, v19
	v_alignbit_b32 v10, v12, v7, v17
	v_cndmask_b32_e64 v10, v10, v12, s[6:7]
	v_ffbh_u32_e32 v12, v15
	v_alignbit_b32 v11, v14, v10, 30
	v_min_u32_e32 v12, 32, v12
	v_alignbit_b32 v7, v10, v7, 30
	v_xor_b32_e32 v11, v11, v19
	v_sub_u32_e32 v13, 31, v12
	v_xor_b32_e32 v7, v7, v19
	v_alignbit_b32 v14, v15, v11, v13
	v_alignbit_b32 v7, v11, v7, v13
	;; [unrolled: 1-line block ×3, first 2 shown]
	v_ffbh_u32_e32 v11, v10
	v_min_u32_e32 v11, 32, v11
	v_lshrrev_b32_e32 v16, 29, v8
	v_not_b32_e32 v13, v11
	v_alignbit_b32 v7, v10, v7, v13
	v_lshlrev_b32_e32 v10, 31, v16
	v_or_b32_e32 v13, 0x33000000, v10
	v_add_lshl_u32 v11, v11, v12, 23
	v_lshrrev_b32_e32 v7, 9, v7
	v_sub_u32_e32 v11, v13, v11
	v_or_b32_e32 v10, 0.5, v10
	v_lshlrev_b32_e32 v12, 23, v12
	v_or_b32_e32 v7, v11, v7
	v_lshrrev_b32_e32 v11, 9, v14
	v_sub_u32_e32 v10, v10, v12
	v_or_b32_e32 v10, v11, v10
	s_mov_b32 s0, 0x3fc90fda
	v_mul_f32_e32 v11, 0x3fc90fda, v10
	v_fma_f32 v12, v10, s0, -v11
	v_fmac_f32_e32 v12, 0x33a22168, v10
	v_fmac_f32_e32 v12, 0x3fc90fda, v7
	v_lshrrev_b32_e32 v8, 30, v8
	v_add_f32_e32 v7, v11, v12
	v_add_u32_e32 v8, v18, v8
	s_andn2_saveexec_b64 s[0:1], s[18:19]
	s_cbranch_execz .LBB10_15
	s_branch .LBB10_14
.LBB10_13:
	s_andn2_saveexec_b64 s[0:1], s[18:19]
	s_cbranch_execz .LBB10_15
.LBB10_14:
	s_mov_b32 s2, 0x3f22f983
	v_mul_f32_e64 v7, |v1|, s2
	v_rndne_f32_e32 v10, v7
	s_mov_b32 s2, 0xbfc90fda
	v_cvt_i32_f32_e32 v8, v10
	v_fma_f32 v7, v10, s2, |v1|
	v_fmac_f32_e32 v7, 0xb3a22168, v10
	v_fmac_f32_e32 v7, 0xa7c234c4, v10
.LBB10_15:
	s_or_b64 exec, exec, s[0:1]
                                        ; implicit-def: $vgpr11
                                        ; implicit-def: $vgpr10
	s_and_saveexec_b64 s[0:1], s[16:17]
	s_xor_b64 s[16:17], exec, s[0:1]
	s_cbranch_execz .LBB10_17
; %bb.16:
	v_and_b32_e32 v10, 0x7fffff, v6
	v_or_b32_e32 v19, 0x800000, v10
	s_mov_b32 s0, 0xfe5163ab
	v_mad_u64_u32 v[10:11], s[0:1], v19, s0, 0
	v_mov_b32_e32 v12, 0
	s_mov_b32 s0, 0x3c439041
	v_mad_u64_u32 v[13:14], s[0:1], v19, s0, v[11:12]
	s_mov_b32 s0, 0xdb629599
	v_add_u32_e32 v9, 0xffffff88, v9
	v_mov_b32_e32 v11, v14
	v_mad_u64_u32 v[14:15], s[0:1], v19, s0, v[11:12]
	s_mov_b32 s0, 0xf534ddc0
	v_not_b32_e32 v18, 63
	v_mov_b32_e32 v11, v15
	v_mad_u64_u32 v[15:16], s[0:1], v19, s0, v[11:12]
	s_mov_b32 s0, 0xfc2757d1
	v_cmp_lt_u32_e32 vcc, 63, v9
	v_mov_b32_e32 v11, v16
	v_mad_u64_u32 v[16:17], s[0:1], v19, s0, v[11:12]
	v_cndmask_b32_e32 v11, 0, v18, vcc
	v_add_u32_e32 v9, v11, v9
	v_mov_b32_e32 v11, v17
	s_mov_b32 s0, 0x4e441529
	v_mad_u64_u32 v[17:18], s[0:1], v19, s0, v[11:12]
	v_not_b32_e32 v20, 31
	v_cmp_lt_u32_e64 s[0:1], 31, v9
	v_cndmask_b32_e64 v11, 0, v20, s[0:1]
	v_add_u32_e32 v9, v11, v9
	v_mov_b32_e32 v11, v18
	s_mov_b32 s2, 0xa2f9836e
	v_mad_u64_u32 v[11:12], s[2:3], v19, s2, v[11:12]
	v_cmp_lt_u32_e64 s[2:3], 31, v9
	v_cndmask_b32_e64 v18, 0, v20, s[2:3]
	v_add_u32_e32 v9, v18, v9
	v_cndmask_b32_e32 v18, v17, v15, vcc
	v_cndmask_b32_e32 v11, v11, v16, vcc
	;; [unrolled: 1-line block ×3, first 2 shown]
	v_cndmask_b32_e64 v19, v11, v18, s[0:1]
	v_cndmask_b32_e64 v11, v12, v11, s[0:1]
	v_cndmask_b32_e32 v12, v16, v14, vcc
	v_cndmask_b32_e64 v16, v18, v12, s[0:1]
	v_cndmask_b32_e64 v11, v11, v19, s[2:3]
	;; [unrolled: 1-line block ×3, first 2 shown]
	v_sub_u32_e32 v18, 32, v9
	v_alignbit_b32 v19, v11, v17, v18
	v_cmp_eq_u32_e64 s[6:7], 0, v9
	v_cndmask_b32_e64 v9, v19, v11, s[6:7]
	v_cndmask_b32_e32 v11, v15, v13, vcc
	v_cndmask_b32_e64 v12, v12, v11, s[0:1]
	v_cndmask_b32_e64 v13, v16, v12, s[2:3]
	v_alignbit_b32 v15, v17, v13, v18
	v_cndmask_b32_e32 v10, v14, v10, vcc
	v_cndmask_b32_e64 v15, v15, v17, s[6:7]
	v_bfe_u32 v19, v9, 29, 1
	v_cndmask_b32_e64 v10, v11, v10, s[0:1]
	v_alignbit_b32 v16, v9, v15, 30
	v_sub_u32_e32 v20, 0, v19
	v_cndmask_b32_e64 v10, v12, v10, s[2:3]
	v_xor_b32_e32 v16, v16, v20
	v_alignbit_b32 v11, v13, v10, v18
	v_cndmask_b32_e64 v11, v11, v13, s[6:7]
	v_ffbh_u32_e32 v13, v16
	v_alignbit_b32 v12, v15, v11, 30
	v_min_u32_e32 v13, 32, v13
	v_alignbit_b32 v10, v11, v10, 30
	v_xor_b32_e32 v12, v12, v20
	v_sub_u32_e32 v14, 31, v13
	v_xor_b32_e32 v10, v10, v20
	v_alignbit_b32 v15, v16, v12, v14
	v_alignbit_b32 v10, v12, v10, v14
	;; [unrolled: 1-line block ×3, first 2 shown]
	v_ffbh_u32_e32 v12, v11
	v_min_u32_e32 v12, 32, v12
	v_lshrrev_b32_e32 v17, 29, v9
	v_not_b32_e32 v14, v12
	v_alignbit_b32 v10, v11, v10, v14
	v_lshlrev_b32_e32 v11, 31, v17
	v_or_b32_e32 v14, 0x33000000, v11
	v_add_lshl_u32 v12, v12, v13, 23
	v_lshrrev_b32_e32 v10, 9, v10
	v_sub_u32_e32 v12, v14, v12
	v_or_b32_e32 v11, 0.5, v11
	v_lshlrev_b32_e32 v13, 23, v13
	v_or_b32_e32 v10, v12, v10
	v_lshrrev_b32_e32 v12, 9, v15
	v_sub_u32_e32 v11, v11, v13
	v_or_b32_e32 v11, v12, v11
	s_mov_b32 s0, 0x3fc90fda
	v_mul_f32_e32 v12, 0x3fc90fda, v11
	v_fma_f32 v13, v11, s0, -v12
	v_fmac_f32_e32 v13, 0x33a22168, v11
	v_fmac_f32_e32 v13, 0x3fc90fda, v10
	v_lshrrev_b32_e32 v9, 30, v9
	v_add_f32_e32 v10, v12, v13
	v_add_u32_e32 v11, v19, v9
	s_andn2_saveexec_b64 s[0:1], s[16:17]
	s_cbranch_execnz .LBB10_18
	s_branch .LBB10_19
.LBB10_17:
	s_andn2_saveexec_b64 s[0:1], s[16:17]
	s_cbranch_execz .LBB10_19
.LBB10_18:
	s_mov_b32 s2, 0x3f22f983
	v_mul_f32_e64 v9, |v1|, s2
	v_rndne_f32_e32 v9, v9
	s_mov_b32 s2, 0xbfc90fda
	v_cvt_i32_f32_e32 v11, v9
	v_fma_f32 v10, v9, s2, |v1|
	v_fmac_f32_e32 v10, 0xb3a22168, v9
	v_fmac_f32_e32 v10, 0xa7c234c4, v9
.LBB10_19:
	s_or_b64 exec, exec, s[0:1]
	v_mul_lo_u32 v9, v4, s9
	v_mul_lo_u32 v14, v4, s12
	s_load_dwordx4 s[0:3], s[4:5], 0x0
	v_mad_u64_u32 v[12:13], s[4:5], v3, s13, v[0:1]
	v_sub_u32_e32 v5, v5, v9
	v_mul_lo_u32 v9, v5, s11
	s_waitcnt lgkmcnt(0)
	v_mov_b32_e32 v15, s1
	s_ashr_i32 s1, s21, 31
	v_mov_b32_e32 v18, 0x3c0881c4
	v_add3_u32 v12, v12, v14, v9
	v_ashrrev_i32_e32 v13, 31, v12
	v_lshlrev_b64 v[12:13], 2, v[12:13]
	v_mov_b32_e32 v19, 0xbe2aaa9d
	v_add_co_u32_e32 v12, vcc, s0, v12
	s_mov_b32 s0, s21
	v_addc_co_u32_e32 v13, vcc, v15, v13, vcc
	s_lshl_b64 s[0:1], s[0:1], 2
	v_mov_b32_e32 v9, s1
	v_add_co_u32_e32 v14, vcc, s0, v12
	v_addc_co_u32_e32 v15, vcc, v13, v9, vcc
	global_load_dword v16, v[12:13], off
	global_load_dword v17, v[14:15], off
	v_mul_f32_e32 v14, v7, v7
	v_mov_b32_e32 v15, 0x3c0881c4
	v_mad_u64_u32 v[12:13], s[4:5], v3, s20, v[0:1]
	v_mul_f32_e32 v0, v10, v10
	v_fmac_f32_e32 v18, 0xb94c1982, v14
	v_fmac_f32_e32 v15, 0xb94c1982, v0
	v_fma_f32 v3, v14, v18, v19
	v_mov_b32_e32 v13, 0xbab64f3b
	v_lshlrev_b32_e32 v18, 30, v11
	v_mov_b32_e32 v20, 0xbab64f3b
	v_fmac_f32_e32 v19, v0, v15
	v_fmac_f32_e32 v13, 0x37d75334, v14
	v_mov_b32_e32 v15, 0x3d2aabf7
	v_xor_b32_e32 v6, v6, v1
	v_and_b32_e32 v18, 0x80000000, v18
	v_fmac_f32_e32 v20, 0x37d75334, v0
	v_fma_f32 v13, v14, v13, v15
	v_xor_b32_e32 v6, v6, v18
	v_mov_b32_e32 v18, 0xbf000004
	v_mul_f32_e32 v3, v14, v3
	v_fmac_f32_e32 v15, v0, v20
	v_fma_f32 v13, v14, v13, v18
	v_fmac_f32_e32 v7, v7, v3
	v_and_b32_e32 v3, 1, v8
	v_fmac_f32_e32 v18, v0, v15
	v_fma_f32 v13, v14, v13, 1.0
	v_and_b32_e32 v11, 1, v11
	v_mul_f32_e32 v15, v0, v19
	v_cmp_eq_u32_e32 vcc, 0, v3
	v_mul_lo_u32 v4, v4, s15
	v_fmac_f32_e32 v10, v10, v15
	v_fma_f32 v0, v0, v18, 1.0
	v_cndmask_b32_e64 v3, -v7, v13, vcc
	v_mul_lo_u32 v5, v5, s14
	v_cmp_eq_u32_e32 vcc, 0, v11
	v_lshlrev_b32_e32 v8, 30, v8
	s_movk_i32 s1, 0x1f8
	v_cndmask_b32_e32 v0, v0, v10, vcc
	v_mov_b32_e32 v14, 0x7fc00000
	v_and_b32_e32 v8, 0x80000000, v8
	v_xor_b32_e32 v0, v6, v0
	v_cmp_class_f32_e64 vcc, v1, s1
	v_xor_b32_e32 v3, v8, v3
	v_cndmask_b32_e32 v0, v14, v0, vcc
	v_cndmask_b32_e32 v1, v14, v3, vcc
	v_mul_f32_e32 v8, v2, v0
	v_add3_u32 v0, v12, v4, v5
	v_mul_f32_e32 v6, v2, v1
	v_ashrrev_i32_e32 v1, 31, v0
	v_lshlrev_b64 v[0:1], 2, v[0:1]
	v_mov_b32_e32 v7, s3
	v_add_co_u32_e32 v0, vcc, s2, v0
	v_addc_co_u32_e32 v1, vcc, v7, v1, vcc
	v_add_co_u32_e32 v2, vcc, s0, v0
	v_addc_co_u32_e32 v3, vcc, v1, v9, vcc
	s_waitcnt vmcnt(1)
	v_mul_f32_e32 v4, v16, v8
	s_waitcnt vmcnt(0)
	v_mul_f32_e32 v5, v17, v8
	v_fma_f32 v5, v6, v16, -v5
	v_fmac_f32_e32 v4, v6, v17
	global_store_dword v[0:1], v5, off
	global_store_dword v[2:3], v4, off
.LBB10_20:
	s_endpgm
	.section	.rodata,"a",@progbits
	.p2align	6, 0x0
	.amdhsa_kernel _ZL11rope_visionILb1ELb0EfEvPKT1_PS0_iiiiiiiiiiPKifff14rope_corr_dimsfPKf14mrope_sections
		.amdhsa_group_segment_fixed_size 0
		.amdhsa_private_segment_fixed_size 0
		.amdhsa_kernarg_size 368
		.amdhsa_user_sgpr_count 6
		.amdhsa_user_sgpr_private_segment_buffer 1
		.amdhsa_user_sgpr_dispatch_ptr 0
		.amdhsa_user_sgpr_queue_ptr 0
		.amdhsa_user_sgpr_kernarg_segment_ptr 1
		.amdhsa_user_sgpr_dispatch_id 0
		.amdhsa_user_sgpr_flat_scratch_init 0
		.amdhsa_user_sgpr_private_segment_size 0
		.amdhsa_uses_dynamic_stack 0
		.amdhsa_system_sgpr_private_segment_wavefront_offset 0
		.amdhsa_system_sgpr_workgroup_id_x 1
		.amdhsa_system_sgpr_workgroup_id_y 1
		.amdhsa_system_sgpr_workgroup_id_z 0
		.amdhsa_system_sgpr_workgroup_info 0
		.amdhsa_system_vgpr_workitem_id 1
		.amdhsa_next_free_vgpr 21
		.amdhsa_next_free_sgpr 26
		.amdhsa_reserve_vcc 1
		.amdhsa_reserve_flat_scratch 0
		.amdhsa_float_round_mode_32 0
		.amdhsa_float_round_mode_16_64 0
		.amdhsa_float_denorm_mode_32 3
		.amdhsa_float_denorm_mode_16_64 3
		.amdhsa_dx10_clamp 1
		.amdhsa_ieee_mode 1
		.amdhsa_fp16_overflow 0
		.amdhsa_exception_fp_ieee_invalid_op 0
		.amdhsa_exception_fp_denorm_src 0
		.amdhsa_exception_fp_ieee_div_zero 0
		.amdhsa_exception_fp_ieee_overflow 0
		.amdhsa_exception_fp_ieee_underflow 0
		.amdhsa_exception_fp_ieee_inexact 0
		.amdhsa_exception_int_div_zero 0
	.end_amdhsa_kernel
	.section	.text._ZL11rope_visionILb1ELb0EfEvPKT1_PS0_iiiiiiiiiiPKifff14rope_corr_dimsfPKf14mrope_sections,"axG",@progbits,_ZL11rope_visionILb1ELb0EfEvPKT1_PS0_iiiiiiiiiiPKifff14rope_corr_dimsfPKf14mrope_sections,comdat
.Lfunc_end10:
	.size	_ZL11rope_visionILb1ELb0EfEvPKT1_PS0_iiiiiiiiiiPKifff14rope_corr_dimsfPKf14mrope_sections, .Lfunc_end10-_ZL11rope_visionILb1ELb0EfEvPKT1_PS0_iiiiiiiiiiPKifff14rope_corr_dimsfPKf14mrope_sections
                                        ; -- End function
	.set _ZL11rope_visionILb1ELb0EfEvPKT1_PS0_iiiiiiiiiiPKifff14rope_corr_dimsfPKf14mrope_sections.num_vgpr, 21
	.set _ZL11rope_visionILb1ELb0EfEvPKT1_PS0_iiiiiiiiiiPKifff14rope_corr_dimsfPKf14mrope_sections.num_agpr, 0
	.set _ZL11rope_visionILb1ELb0EfEvPKT1_PS0_iiiiiiiiiiPKifff14rope_corr_dimsfPKf14mrope_sections.numbered_sgpr, 26
	.set _ZL11rope_visionILb1ELb0EfEvPKT1_PS0_iiiiiiiiiiPKifff14rope_corr_dimsfPKf14mrope_sections.num_named_barrier, 0
	.set _ZL11rope_visionILb1ELb0EfEvPKT1_PS0_iiiiiiiiiiPKifff14rope_corr_dimsfPKf14mrope_sections.private_seg_size, 0
	.set _ZL11rope_visionILb1ELb0EfEvPKT1_PS0_iiiiiiiiiiPKifff14rope_corr_dimsfPKf14mrope_sections.uses_vcc, 1
	.set _ZL11rope_visionILb1ELb0EfEvPKT1_PS0_iiiiiiiiiiPKifff14rope_corr_dimsfPKf14mrope_sections.uses_flat_scratch, 0
	.set _ZL11rope_visionILb1ELb0EfEvPKT1_PS0_iiiiiiiiiiPKifff14rope_corr_dimsfPKf14mrope_sections.has_dyn_sized_stack, 0
	.set _ZL11rope_visionILb1ELb0EfEvPKT1_PS0_iiiiiiiiiiPKifff14rope_corr_dimsfPKf14mrope_sections.has_recursion, 0
	.set _ZL11rope_visionILb1ELb0EfEvPKT1_PS0_iiiiiiiiiiPKifff14rope_corr_dimsfPKf14mrope_sections.has_indirect_call, 0
	.section	.AMDGPU.csdata,"",@progbits
; Kernel info:
; codeLenInByte = 3724
; TotalNumSgprs: 30
; NumVgprs: 21
; ScratchSize: 0
; MemoryBound: 0
; FloatMode: 240
; IeeeMode: 1
; LDSByteSize: 0 bytes/workgroup (compile time only)
; SGPRBlocks: 3
; VGPRBlocks: 5
; NumSGPRsForWavesPerEU: 30
; NumVGPRsForWavesPerEU: 21
; Occupancy: 10
; WaveLimiterHint : 0
; COMPUTE_PGM_RSRC2:SCRATCH_EN: 0
; COMPUTE_PGM_RSRC2:USER_SGPR: 6
; COMPUTE_PGM_RSRC2:TRAP_HANDLER: 0
; COMPUTE_PGM_RSRC2:TGID_X_EN: 1
; COMPUTE_PGM_RSRC2:TGID_Y_EN: 1
; COMPUTE_PGM_RSRC2:TGID_Z_EN: 0
; COMPUTE_PGM_RSRC2:TIDIG_COMP_CNT: 1
	.section	.text._ZL11rope_visionILb1ELb1EfEvPKT1_PS0_iiiiiiiiiiPKifff14rope_corr_dimsfPKf14mrope_sections,"axG",@progbits,_ZL11rope_visionILb1ELb1EfEvPKT1_PS0_iiiiiiiiiiPKifff14rope_corr_dimsfPKf14mrope_sections,comdat
	.globl	_ZL11rope_visionILb1ELb1EfEvPKT1_PS0_iiiiiiiiiiPKifff14rope_corr_dimsfPKf14mrope_sections ; -- Begin function _ZL11rope_visionILb1ELb1EfEvPKT1_PS0_iiiiiiiiiiPKifff14rope_corr_dimsfPKf14mrope_sections
	.p2align	8
	.type	_ZL11rope_visionILb1ELb1EfEvPKT1_PS0_iiiiiiiiiiPKifff14rope_corr_dimsfPKf14mrope_sections,@function
_ZL11rope_visionILb1ELb1EfEvPKT1_PS0_iiiiiiiiiiPKifff14rope_corr_dimsfPKf14mrope_sections: ; @_ZL11rope_visionILb1ELb1EfEvPKT1_PS0_iiiiiiiiiiPKifff14rope_corr_dimsfPKf14mrope_sections
; %bb.0:
	s_load_dword s0, s[4:5], 0x7c
	s_load_dwordx8 s[8:15], s[4:5], 0x10
	s_add_u32 s2, s4, 0x70
	s_addc_u32 s3, s5, 0
	s_waitcnt lgkmcnt(0)
	s_lshr_b32 s0, s0, 16
	s_mul_i32 s7, s7, s0
	v_add_lshl_u32 v1, s7, v1, 1
	v_cmp_gt_i32_e32 vcc, s8, v1
	s_and_saveexec_b64 s[0:1], vcc
	s_cbranch_execz .LBB11_20
; %bb.1:
	s_mul_i32 s7, s10, s9
	s_abs_i32 s8, s7
	v_cvt_f32_u32_e32 v2, s8
	s_load_dwordx2 s[0:1], s[4:5], 0x60
	s_load_dword s16, s[2:3], 0xc
	s_sub_i32 s3, 0, s8
	v_cvt_f32_u32_e32 v3, s9
	v_rcp_iflag_f32_e32 v2, v2
	s_sub_i32 s2, 0, s9
	s_waitcnt lgkmcnt(0)
	s_add_i32 s1, s1, s0
	v_rcp_iflag_f32_e32 v3, v3
	v_mul_f32_e32 v2, 0x4f7ffffe, v2
	v_cvt_u32_f32_e32 v2, v2
	s_mov_b64 s[24:25], -1
	v_mul_f32_e32 v3, 0x4f7ffffe, v3
	v_mul_lo_u32 v4, s3, v2
	s_and_b32 s3, s16, 0xffff
	s_mul_i32 s6, s6, s3
	v_add_u32_e32 v0, s6, v0
	v_mul_hi_u32 v4, v2, v4
	v_sub_u32_e32 v5, 0, v0
	v_max_i32_e32 v5, v0, v5
	s_load_dwordx2 s[20:21], s[4:5], 0x30
	s_load_dwordx4 s[16:19], s[4:5], 0x40
	v_add_u32_e32 v2, v2, v4
	v_mul_hi_u32 v2, v5, v2
	v_cvt_u32_f32_e32 v4, v3
	v_xor_b32_e32 v3, s7, v0
	v_ashrrev_i32_e32 v3, 31, v3
	v_mul_lo_u32 v6, v2, s8
	v_add_u32_e32 v8, 1, v2
	v_mul_lo_u32 v7, s2, v4
	s_abs_i32 s2, s1
	v_sub_u32_e32 v5, v5, v6
	v_cmp_le_u32_e32 vcc, s8, v5
	v_subrev_u32_e32 v6, s8, v5
	v_cndmask_b32_e32 v2, v2, v8, vcc
	v_cndmask_b32_e32 v5, v5, v6, vcc
	v_add_u32_e32 v6, 1, v2
	v_cmp_le_u32_e32 vcc, s8, v5
	v_cndmask_b32_e32 v2, v2, v6, vcc
	v_xor_b32_e32 v2, v2, v3
	v_sub_u32_e32 v3, v2, v3
	v_mul_lo_u32 v2, s7, v3
	v_mul_hi_u32 v6, v4, v7
	v_cvt_f32_u32_e32 v7, s2
	s_sub_i32 s3, 0, s2
	v_sub_u32_e32 v5, v0, v2
	v_add_u32_e32 v0, v4, v6
	v_rcp_iflag_f32_e32 v2, v7
	v_mul_hi_u32 v0, v5, v0
	s_load_dwordx2 s[6:7], s[4:5], 0x50
	v_mul_f32_e32 v2, 0x4f7ffffe, v2
	v_cvt_u32_f32_e32 v2, v2
	v_mul_lo_u32 v4, v0, s9
	v_add_u32_e32 v7, 1, v0
	v_mul_lo_u32 v6, s3, v2
	v_sub_u32_e32 v4, v5, v4
	v_cmp_le_u32_e32 vcc, s9, v4
	v_cndmask_b32_e32 v7, v0, v7, vcc
	v_mul_hi_u32 v6, v2, v6
	v_ashrrev_i32_e32 v0, 1, v1
	v_sub_u32_e32 v8, 0, v0
	v_max_i32_e32 v8, v0, v8
	v_add_u32_e32 v2, v2, v6
	v_mul_hi_u32 v2, v8, v2
	v_subrev_u32_e32 v6, s9, v4
	v_cndmask_b32_e32 v4, v4, v6, vcc
	v_add_u32_e32 v6, 1, v7
	v_mul_lo_u32 v2, v2, s2
	v_cmp_le_u32_e32 vcc, s9, v4
	v_cndmask_b32_e32 v4, v7, v6, vcc
	v_ashrrev_i32_e32 v1, 31, v1
	v_sub_u32_e32 v2, v8, v2
	v_subrev_u32_e32 v6, s2, v2
	v_cmp_le_u32_e32 vcc, s2, v2
	v_cndmask_b32_e32 v2, v2, v6, vcc
	v_subrev_u32_e32 v6, s2, v2
	v_cmp_le_u32_e32 vcc, s2, v2
	v_cndmask_b32_e32 v2, v2, v6, vcc
	v_xor_b32_e32 v2, v2, v1
	v_sub_u32_e32 v7, v2, v1
	v_cmp_le_i32_e32 vcc, s0, v7
	v_mov_b32_e32 v1, v4
	s_and_saveexec_b64 s[2:3], vcc
	s_cbranch_execz .LBB11_6
; %bb.2:
	s_cmp_gt_i32 s1, -1
	s_cbranch_scc0 .LBB11_4
; %bb.3:
	v_subrev_u32_e32 v7, s0, v7
	v_add_u32_e32 v1, s10, v4
	s_mov_b64 s[0:1], -1
	s_branch .LBB11_5
.LBB11_4:
	s_mov_b64 s[0:1], 0
                                        ; implicit-def: $vgpr7
                                        ; implicit-def: $vgpr1
.LBB11_5:
	s_orn2_b64 s[24:25], s[0:1], exec
.LBB11_6:
	s_or_b64 exec, exec, s[2:3]
	v_mov_b32_e32 v6, 0
	s_and_saveexec_b64 s[22:23], s[24:25]
	s_cbranch_execz .LBB11_8
; %bb.7:
	s_load_dwordx2 s[0:1], s[4:5], 0x38
	v_mov_b32_e32 v2, 0
	v_lshlrev_b64 v[1:2], 2, v[1:2]
	v_mov_b32_e32 v9, 0x3e91f4c4
	v_mov_b32_e32 v10, 0x3ecccdef
	s_waitcnt lgkmcnt(0)
	v_mov_b32_e32 v6, s1
	v_add_co_u32_e32 v1, vcc, s0, v1
	v_addc_co_u32_e32 v2, vcc, v6, v2, vcc
	global_load_dword v6, v[1:2], off
	v_cvt_f32_i32_e32 v1, v7
	v_cmp_neq_f32_e64 vcc, s7, 1.0
	v_mov_b32_e32 v7, s7
	s_mov_b32 s0, 0x3f2aaaab
	v_cndmask_b32_e32 v2, 1.0, v1, vcc
	v_cmp_neq_f32_e32 vcc, 0, v2
	v_cndmask_b32_e32 v1, 1.0, v7, vcc
	v_frexp_mant_f32_e64 v11, |v1|
	v_cmp_gt_f32_e32 vcc, s0, v11
	v_cvt_f64_f32_e64 v[7:8], |v1|
	v_cndmask_b32_e64 v12, 1.0, 2.0, vcc
	v_mul_f32_e32 v11, v11, v12
	v_add_f32_e32 v13, 1.0, v11
	v_rcp_f32_e32 v14, v13
	v_frexp_exp_i32_f64_e32 v7, v[7:8]
	v_add_f32_e32 v12, -1.0, v11
	v_add_f32_e32 v15, -1.0, v13
	v_sub_f32_e32 v8, v11, v15
	v_mul_f32_e32 v11, v12, v14
	v_mul_f32_e32 v15, v13, v11
	v_fma_f32 v13, v11, v13, -v15
	v_fmac_f32_e32 v13, v11, v8
	v_add_f32_e32 v8, v15, v13
	v_subbrev_co_u32_e32 v7, vcc, 0, v7, vcc
	v_sub_f32_e32 v16, v12, v8
	v_sub_f32_e32 v15, v8, v15
	v_cvt_f32_i32_e32 v7, v7
	v_sub_f32_e32 v12, v12, v16
	v_sub_f32_e32 v13, v15, v13
	;; [unrolled: 1-line block ×3, first 2 shown]
	v_add_f32_e32 v8, v13, v8
	v_add_f32_e32 v8, v16, v8
	s_mov_b32 s1, 0x3f317218
	v_mul_f32_e32 v12, 0x3f317218, v7
	v_mul_f32_e32 v8, v14, v8
	v_fma_f32 v13, v7, s1, -v12
	v_add_f32_e32 v14, v11, v8
	v_fmac_f32_e32 v13, 0xb102e308, v7
	v_sub_f32_e32 v7, v14, v11
	v_mul_f32_e32 v11, v14, v14
	v_sub_f32_e32 v7, v8, v7
	v_fma_f32 v8, v14, v14, -v11
	v_add_f32_e32 v15, v7, v7
	v_fmac_f32_e32 v8, v14, v15
	v_add_f32_e32 v15, v11, v8
	v_fmac_f32_e32 v9, 0x3e76c4e1, v15
	v_mul_f32_e32 v17, v14, v15
	v_sub_f32_e32 v11, v15, v11
	v_fmac_f32_e32 v10, v15, v9
	v_fma_f32 v9, v15, v14, -v17
	v_ldexp_f32 v16, v7, 1
	v_sub_f32_e32 v8, v8, v11
	v_fmac_f32_e32 v9, v15, v7
	v_mul_f32_e32 v7, v15, v10
	v_fmac_f32_e32 v9, v8, v14
	v_fma_f32 v11, v15, v10, -v7
	v_add_f32_e32 v15, v17, v9
	v_fmac_f32_e32 v11, v8, v10
	v_sub_f32_e32 v8, v15, v17
	v_add_f32_e32 v10, v7, v11
	v_sub_f32_e32 v8, v9, v8
	v_add_f32_e32 v9, 0x3f2aaaaa, v10
	v_sub_f32_e32 v7, v10, v7
	v_sub_f32_e32 v7, v11, v7
	v_add_f32_e32 v11, 0xbf2aaaaa, v9
	v_add_f32_e32 v7, 0x31739010, v7
	v_sub_f32_e32 v10, v10, v11
	v_add_f32_e32 v7, v7, v10
	v_add_f32_e32 v10, v9, v7
	v_sub_f32_e32 v9, v9, v10
	v_mul_f32_e32 v11, v15, v10
	v_add_f32_e32 v7, v7, v9
	v_fma_f32 v9, v15, v10, -v11
	v_fmac_f32_e32 v9, v15, v7
	v_fmac_f32_e32 v9, v8, v10
	v_add_f32_e32 v8, v12, v13
	v_sub_f32_e32 v10, v8, v12
	v_add_f32_e32 v12, v11, v9
	v_ldexp_f32 v7, v14, 1
	v_sub_f32_e32 v11, v12, v11
	v_sub_f32_e32 v9, v9, v11
	v_add_f32_e32 v11, v7, v12
	v_sub_f32_e32 v7, v11, v7
	v_sub_f32_e32 v7, v12, v7
	v_add_f32_e32 v9, v16, v9
	v_add_f32_e32 v7, v9, v7
	;; [unrolled: 1-line block ×3, first 2 shown]
	v_sub_f32_e32 v11, v9, v11
	v_sub_f32_e32 v7, v7, v11
	v_add_f32_e32 v11, v8, v9
	v_sub_f32_e32 v12, v11, v8
	v_sub_f32_e32 v10, v13, v10
	;; [unrolled: 1-line block ×5, first 2 shown]
	v_add_f32_e32 v8, v9, v8
	v_add_f32_e32 v9, v10, v7
	v_sub_f32_e32 v12, v9, v10
	v_sub_f32_e32 v13, v9, v12
	v_add_f32_e32 v8, v9, v8
	v_sub_f32_e32 v10, v10, v13
	v_sub_f32_e32 v7, v7, v12
	v_add_f32_e32 v9, v11, v8
	v_add_f32_e32 v7, v7, v10
	v_sub_f32_e32 v10, v9, v11
	v_sub_f32_e32 v8, v8, v10
	v_add_f32_e32 v7, v7, v8
	v_add_f32_e32 v8, v9, v7
	v_sub_f32_e32 v9, v8, v9
	v_sub_f32_e32 v7, v7, v9
	v_mul_f32_e32 v9, v2, v8
	v_fma_f32 v8, v2, v8, -v9
	v_fmac_f32_e32 v8, v2, v7
	s_movk_i32 s2, 0x204
	v_add_f32_e32 v7, v9, v8
	v_cmp_class_f32_e64 vcc, v9, s2
	v_sub_f32_e32 v10, v7, v9
	v_cndmask_b32_e32 v7, v7, v9, vcc
	s_mov_b32 s1, 0x42b17218
	v_mov_b32_e32 v9, 0x37000000
	v_cmp_eq_f32_e32 vcc, s1, v7
	v_cndmask_b32_e32 v9, 0, v9, vcc
	v_sub_f32_e32 v8, v8, v10
	v_sub_f32_e32 v10, v7, v9
	s_mov_b32 s3, 0x3fb8aa3b
	v_mul_f32_e32 v11, 0x3fb8aa3b, v10
	v_fma_f32 v12, v10, s3, -v11
	v_rndne_f32_e32 v13, v11
	v_fmac_f32_e32 v12, 0x32a5705f, v10
	v_sub_f32_e32 v11, v11, v13
	v_add_f32_e32 v11, v11, v12
	v_exp_f32_e32 v11, v11
	v_cvt_i32_f32_e32 v12, v13
	s_mov_b32 s0, 0x7f800000
	v_cmp_neq_f32_e64 vcc, |v7|, s0
	s_mov_b32 s0, 0xc2ce8ed0
	v_cndmask_b32_e32 v7, 0, v8, vcc
	v_ldexp_f32 v8, v11, v12
	v_cmp_ngt_f32_e32 vcc, s0, v10
	v_add_f32_e32 v7, v9, v7
	v_cndmask_b32_e32 v8, 0, v8, vcc
	v_mov_b32_e32 v9, 0x7f800000
	v_cmp_nlt_f32_e32 vcc, s1, v10
	v_cndmask_b32_e32 v8, v9, v8, vcc
	v_fma_f32 v7, v8, v7, v8
	v_cmp_class_f32_e64 vcc, v8, s2
	v_cndmask_b32_e32 v7, v7, v8, vcc
	v_trunc_f32_e32 v8, v2
	v_cmp_eq_f32_e32 vcc, v8, v2
	v_mul_f32_e32 v8, 0.5, v2
	v_trunc_f32_e32 v11, v8
	v_cmp_neq_f32_e64 s[0:1], v11, v8
	s_and_b64 s[0:1], vcc, s[0:1]
	v_cndmask_b32_e64 v8, 1.0, v1, s[0:1]
	s_brev_b32 s7, -2
	v_mov_b32_e32 v10, 0x7fc00000
	v_bfi_b32 v7, s7, v7, v8
	v_cndmask_b32_e32 v8, v10, v7, vcc
	v_cmp_gt_f32_e32 vcc, 0, v1
	v_cndmask_b32_e32 v7, v7, v8, vcc
	v_cmp_class_f32_e64 s[24:25], v1, s2
	v_cmp_eq_f32_e32 vcc, 0, v1
	v_cmp_gt_f32_e64 s[2:3], 0, v2
	s_xor_b64 s[2:3], s[2:3], vcc
	s_waitcnt vmcnt(0)
	v_cvt_f32_i32_e32 v6, v6
	v_cndmask_b32_e64 v2, v9, 0, s[2:3]
	v_cndmask_b32_e64 v8, 0, v1, s[0:1]
	v_bfi_b32 v2, s7, v2, v8
	s_or_b64 vcc, vcc, s[24:25]
	v_cndmask_b32_e32 v2, v7, v2, vcc
	v_cmp_o_f32_e32 vcc, v1, v1
	v_cndmask_b32_e32 v1, v10, v2, vcc
	v_mul_f32_e32 v6, v1, v6
.LBB11_8:
	s_or_b64 exec, exec, s[22:23]
	s_load_dwordx2 s[0:1], s[4:5], 0x58
	v_ashrrev_i32_e32 v1, 31, v0
	v_lshlrev_b64 v[1:2], 2, v[0:1]
	s_waitcnt lgkmcnt(0)
	v_mov_b32_e32 v7, s1
	v_add_co_u32_e32 v1, vcc, s0, v1
	v_addc_co_u32_e32 v2, vcc, v7, v2, vcc
	global_load_dword v1, v[1:2], off
	s_waitcnt vmcnt(0)
	v_div_scale_f32 v2, s[0:1], v1, v1, v6
	v_div_scale_f32 v7, vcc, v6, v1, v6
	v_cmp_eq_f32_e64 s[0:1], s17, 0
	v_rcp_f32_e32 v8, v2
	v_fma_f32 v9, -v2, v8, 1.0
	v_fmac_f32_e32 v8, v9, v8
	v_mul_f32_e32 v9, v7, v8
	v_fma_f32 v10, -v2, v9, v7
	v_fmac_f32_e32 v9, v10, v8
	v_fma_f32 v2, -v2, v9, v7
	v_div_fmas_f32 v7, v2, v8, v9
	s_and_b64 vcc, exec, s[0:1]
	v_div_fixup_f32 v6, v7, v1, v6
	v_mul_f32_e32 v1, s16, v6
	s_cbranch_vccnz .LBB11_10
; %bb.9:
	v_cvt_f32_i32_e32 v2, v0
	v_div_scale_f32 v8, s[0:1], s16, s16, 1.0
	v_mov_b32_e32 v7, s19
	v_sub_f32_e32 v7, s6, v7
	v_subrev_f32_e32 v2, s19, v2
	v_max_f32_e32 v7, 0x3a83126f, v7
	v_div_scale_f32 v9, s[0:1], v7, v7, v2
	v_div_scale_f32 v10, s[0:1], 1.0, s16, 1.0
	v_div_scale_f32 v11, vcc, v2, v7, v2
	s_mov_b32 s2, 0x3f317217
	s_mov_b32 s3, 0x7f800000
	v_rcp_f32_e32 v12, v8
	v_fma_f32 v13, -v8, v12, 1.0
	v_fmac_f32_e32 v12, v13, v12
	v_rcp_f32_e32 v14, v9
	v_mul_f32_e32 v13, v10, v12
	v_fma_f32 v15, -v8, v13, v10
	v_fmac_f32_e32 v13, v15, v12
	v_fma_f32 v15, -v9, v14, 1.0
	v_fmac_f32_e32 v14, v15, v14
	v_fma_f32 v8, -v8, v13, v10
	v_mul_f32_e32 v10, v11, v14
	v_fma_f32 v15, -v9, v10, v11
	v_fmac_f32_e32 v10, v15, v14
	v_fma_f32 v9, -v9, v10, v11
	v_div_fmas_f32 v9, v9, v14, v10
	s_mov_b64 vcc, s[0:1]
	v_div_fmas_f32 v8, v8, v12, v13
	s_mov_b32 s0, 0x800000
	v_mov_b32_e32 v10, 0x41b17218
	v_div_fixup_f32 v2, v9, v7, v2 clamp
	v_sub_f32_e32 v2, 1.0, v2
	v_div_fixup_f32 v7, v8, s16, 1.0
	v_cmp_gt_f32_e32 vcc, s0, v7
	s_and_b64 s[0:1], vcc, exec
	s_cselect_b32 s0, 32, 0
	v_ldexp_f32 v7, v7, s0
	v_log_f32_e32 v7, v7
	v_mul_f32_e32 v8, s17, v2
	v_fma_f32 v2, -s17, v2, 1.0
	v_mul_f32_e32 v1, v2, v1
	v_mul_f32_e32 v2, 0x3f317217, v7
	v_fma_f32 v2, v7, s2, -v2
	v_fmac_f32_e32 v2, 0x3377d1cf, v7
	v_cndmask_b32_e32 v9, 0, v10, vcc
	v_fmac_f32_e32 v2, 0x3f317217, v7
	v_cmp_lt_f32_e64 vcc, |v7|, s3
	v_cndmask_b32_e32 v2, v7, v2, vcc
	v_sub_f32_e32 v2, v2, v9
	s_mov_b32 s0, 0x3dcccccd
	v_fma_f32 v2, v2, s0, 1.0
	v_fmac_f32_e32 v1, v8, v6
	v_mul_f32_e32 v2, s18, v2
	s_branch .LBB11_11
.LBB11_10:
	v_mov_b32_e32 v2, s18
.LBB11_11:
	v_and_b32_e32 v6, 0x7fffffff, v1
	s_brev_b32 s0, 18
	v_cmp_nlt_f32_e64 s[16:17], |v1|, s0
	v_lshrrev_b32_e32 v9, 23, v6
                                        ; implicit-def: $vgpr8
                                        ; implicit-def: $vgpr7
	s_and_saveexec_b64 s[0:1], s[16:17]
	s_xor_b64 s[18:19], exec, s[0:1]
	s_cbranch_execz .LBB11_13
; %bb.12:
	v_and_b32_e32 v7, 0x7fffff, v6
	v_or_b32_e32 v18, 0x800000, v7
	s_mov_b32 s0, 0xfe5163ab
	v_mad_u64_u32 v[7:8], s[0:1], v18, s0, 0
	v_mov_b32_e32 v11, 0
	s_mov_b32 s0, 0x3c439041
	v_mov_b32_e32 v10, v8
	v_mad_u64_u32 v[12:13], s[0:1], v18, s0, v[10:11]
	s_mov_b32 s0, 0xdb629599
	v_add_u32_e32 v8, 0xffffff88, v9
	v_mov_b32_e32 v10, v13
	v_mad_u64_u32 v[13:14], s[0:1], v18, s0, v[10:11]
	s_mov_b32 s0, 0xf534ddc0
	v_not_b32_e32 v17, 63
	v_mov_b32_e32 v10, v14
	v_mad_u64_u32 v[14:15], s[0:1], v18, s0, v[10:11]
	s_mov_b32 s0, 0xfc2757d1
	v_cmp_lt_u32_e32 vcc, 63, v8
	v_mov_b32_e32 v10, v15
	v_mad_u64_u32 v[15:16], s[0:1], v18, s0, v[10:11]
	v_cndmask_b32_e32 v10, 0, v17, vcc
	v_add_u32_e32 v8, v10, v8
	v_mov_b32_e32 v10, v16
	s_mov_b32 s0, 0x4e441529
	v_mad_u64_u32 v[16:17], s[0:1], v18, s0, v[10:11]
	v_not_b32_e32 v19, 31
	v_cmp_lt_u32_e64 s[0:1], 31, v8
	v_cndmask_b32_e64 v10, 0, v19, s[0:1]
	v_add_u32_e32 v8, v10, v8
	v_mov_b32_e32 v10, v17
	s_mov_b32 s2, 0xa2f9836e
	v_mad_u64_u32 v[10:11], s[2:3], v18, s2, v[10:11]
	v_cmp_lt_u32_e64 s[2:3], 31, v8
	v_cndmask_b32_e64 v17, 0, v19, s[2:3]
	v_add_u32_e32 v8, v17, v8
	v_cndmask_b32_e32 v17, v16, v14, vcc
	v_cndmask_b32_e32 v10, v10, v15, vcc
	;; [unrolled: 1-line block ×3, first 2 shown]
	v_cndmask_b32_e64 v18, v10, v17, s[0:1]
	v_cndmask_b32_e64 v10, v11, v10, s[0:1]
	v_cndmask_b32_e32 v11, v15, v13, vcc
	v_cndmask_b32_e64 v15, v17, v11, s[0:1]
	v_cndmask_b32_e64 v10, v10, v18, s[2:3]
	;; [unrolled: 1-line block ×3, first 2 shown]
	v_sub_u32_e32 v17, 32, v8
	v_alignbit_b32 v18, v10, v16, v17
	v_cmp_eq_u32_e64 s[6:7], 0, v8
	v_cndmask_b32_e64 v8, v18, v10, s[6:7]
	v_cndmask_b32_e32 v10, v14, v12, vcc
	v_cndmask_b32_e64 v11, v11, v10, s[0:1]
	v_cndmask_b32_e64 v12, v15, v11, s[2:3]
	v_alignbit_b32 v14, v16, v12, v17
	v_cndmask_b32_e32 v7, v13, v7, vcc
	v_cndmask_b32_e64 v14, v14, v16, s[6:7]
	v_bfe_u32 v18, v8, 29, 1
	v_cndmask_b32_e64 v7, v10, v7, s[0:1]
	v_alignbit_b32 v15, v8, v14, 30
	v_sub_u32_e32 v19, 0, v18
	v_cndmask_b32_e64 v7, v11, v7, s[2:3]
	v_xor_b32_e32 v15, v15, v19
	v_alignbit_b32 v10, v12, v7, v17
	v_cndmask_b32_e64 v10, v10, v12, s[6:7]
	v_ffbh_u32_e32 v12, v15
	v_alignbit_b32 v11, v14, v10, 30
	v_min_u32_e32 v12, 32, v12
	v_alignbit_b32 v7, v10, v7, 30
	v_xor_b32_e32 v11, v11, v19
	v_sub_u32_e32 v13, 31, v12
	v_xor_b32_e32 v7, v7, v19
	v_alignbit_b32 v14, v15, v11, v13
	v_alignbit_b32 v7, v11, v7, v13
	v_alignbit_b32 v10, v14, v7, 9
	v_ffbh_u32_e32 v11, v10
	v_min_u32_e32 v11, 32, v11
	v_lshrrev_b32_e32 v16, 29, v8
	v_not_b32_e32 v13, v11
	v_alignbit_b32 v7, v10, v7, v13
	v_lshlrev_b32_e32 v10, 31, v16
	v_or_b32_e32 v13, 0x33000000, v10
	v_add_lshl_u32 v11, v11, v12, 23
	v_lshrrev_b32_e32 v7, 9, v7
	v_sub_u32_e32 v11, v13, v11
	v_or_b32_e32 v10, 0.5, v10
	v_lshlrev_b32_e32 v12, 23, v12
	v_or_b32_e32 v7, v11, v7
	v_lshrrev_b32_e32 v11, 9, v14
	v_sub_u32_e32 v10, v10, v12
	v_or_b32_e32 v10, v11, v10
	s_mov_b32 s0, 0x3fc90fda
	v_mul_f32_e32 v11, 0x3fc90fda, v10
	v_fma_f32 v12, v10, s0, -v11
	v_fmac_f32_e32 v12, 0x33a22168, v10
	v_fmac_f32_e32 v12, 0x3fc90fda, v7
	v_lshrrev_b32_e32 v8, 30, v8
	v_add_f32_e32 v7, v11, v12
	v_add_u32_e32 v8, v18, v8
	s_andn2_saveexec_b64 s[0:1], s[18:19]
	s_cbranch_execz .LBB11_15
	s_branch .LBB11_14
.LBB11_13:
	s_andn2_saveexec_b64 s[0:1], s[18:19]
	s_cbranch_execz .LBB11_15
.LBB11_14:
	s_mov_b32 s2, 0x3f22f983
	v_mul_f32_e64 v7, |v1|, s2
	v_rndne_f32_e32 v10, v7
	s_mov_b32 s2, 0xbfc90fda
	v_cvt_i32_f32_e32 v8, v10
	v_fma_f32 v7, v10, s2, |v1|
	v_fmac_f32_e32 v7, 0xb3a22168, v10
	v_fmac_f32_e32 v7, 0xa7c234c4, v10
.LBB11_15:
	s_or_b64 exec, exec, s[0:1]
                                        ; implicit-def: $vgpr11
                                        ; implicit-def: $vgpr10
	s_and_saveexec_b64 s[0:1], s[16:17]
	s_xor_b64 s[16:17], exec, s[0:1]
	s_cbranch_execz .LBB11_17
; %bb.16:
	v_and_b32_e32 v10, 0x7fffff, v6
	v_or_b32_e32 v19, 0x800000, v10
	s_mov_b32 s0, 0xfe5163ab
	v_mad_u64_u32 v[10:11], s[0:1], v19, s0, 0
	v_mov_b32_e32 v12, 0
	s_mov_b32 s0, 0x3c439041
	v_mad_u64_u32 v[13:14], s[0:1], v19, s0, v[11:12]
	s_mov_b32 s0, 0xdb629599
	v_add_u32_e32 v9, 0xffffff88, v9
	v_mov_b32_e32 v11, v14
	v_mad_u64_u32 v[14:15], s[0:1], v19, s0, v[11:12]
	s_mov_b32 s0, 0xf534ddc0
	v_not_b32_e32 v18, 63
	v_mov_b32_e32 v11, v15
	v_mad_u64_u32 v[15:16], s[0:1], v19, s0, v[11:12]
	s_mov_b32 s0, 0xfc2757d1
	v_cmp_lt_u32_e32 vcc, 63, v9
	v_mov_b32_e32 v11, v16
	v_mad_u64_u32 v[16:17], s[0:1], v19, s0, v[11:12]
	v_cndmask_b32_e32 v11, 0, v18, vcc
	v_add_u32_e32 v9, v11, v9
	v_mov_b32_e32 v11, v17
	s_mov_b32 s0, 0x4e441529
	v_mad_u64_u32 v[17:18], s[0:1], v19, s0, v[11:12]
	v_not_b32_e32 v20, 31
	v_cmp_lt_u32_e64 s[0:1], 31, v9
	v_cndmask_b32_e64 v11, 0, v20, s[0:1]
	v_add_u32_e32 v9, v11, v9
	v_mov_b32_e32 v11, v18
	s_mov_b32 s2, 0xa2f9836e
	v_mad_u64_u32 v[11:12], s[2:3], v19, s2, v[11:12]
	v_cmp_lt_u32_e64 s[2:3], 31, v9
	v_cndmask_b32_e64 v18, 0, v20, s[2:3]
	v_add_u32_e32 v9, v18, v9
	v_cndmask_b32_e32 v18, v17, v15, vcc
	v_cndmask_b32_e32 v11, v11, v16, vcc
	;; [unrolled: 1-line block ×3, first 2 shown]
	v_cndmask_b32_e64 v19, v11, v18, s[0:1]
	v_cndmask_b32_e64 v11, v12, v11, s[0:1]
	v_cndmask_b32_e32 v12, v16, v14, vcc
	v_cndmask_b32_e64 v16, v18, v12, s[0:1]
	v_cndmask_b32_e64 v11, v11, v19, s[2:3]
	;; [unrolled: 1-line block ×3, first 2 shown]
	v_sub_u32_e32 v18, 32, v9
	v_alignbit_b32 v19, v11, v17, v18
	v_cmp_eq_u32_e64 s[6:7], 0, v9
	v_cndmask_b32_e64 v9, v19, v11, s[6:7]
	v_cndmask_b32_e32 v11, v15, v13, vcc
	v_cndmask_b32_e64 v12, v12, v11, s[0:1]
	v_cndmask_b32_e64 v13, v16, v12, s[2:3]
	v_alignbit_b32 v15, v17, v13, v18
	v_cndmask_b32_e32 v10, v14, v10, vcc
	v_cndmask_b32_e64 v15, v15, v17, s[6:7]
	v_bfe_u32 v19, v9, 29, 1
	v_cndmask_b32_e64 v10, v11, v10, s[0:1]
	v_alignbit_b32 v16, v9, v15, 30
	v_sub_u32_e32 v20, 0, v19
	v_cndmask_b32_e64 v10, v12, v10, s[2:3]
	v_xor_b32_e32 v16, v16, v20
	v_alignbit_b32 v11, v13, v10, v18
	v_cndmask_b32_e64 v11, v11, v13, s[6:7]
	v_ffbh_u32_e32 v13, v16
	v_alignbit_b32 v12, v15, v11, 30
	v_min_u32_e32 v13, 32, v13
	v_alignbit_b32 v10, v11, v10, 30
	v_xor_b32_e32 v12, v12, v20
	v_sub_u32_e32 v14, 31, v13
	v_xor_b32_e32 v10, v10, v20
	v_alignbit_b32 v15, v16, v12, v14
	v_alignbit_b32 v10, v12, v10, v14
	;; [unrolled: 1-line block ×3, first 2 shown]
	v_ffbh_u32_e32 v12, v11
	v_min_u32_e32 v12, 32, v12
	v_lshrrev_b32_e32 v17, 29, v9
	v_not_b32_e32 v14, v12
	v_alignbit_b32 v10, v11, v10, v14
	v_lshlrev_b32_e32 v11, 31, v17
	v_or_b32_e32 v14, 0x33000000, v11
	v_add_lshl_u32 v12, v12, v13, 23
	v_lshrrev_b32_e32 v10, 9, v10
	v_sub_u32_e32 v12, v14, v12
	v_or_b32_e32 v11, 0.5, v11
	v_lshlrev_b32_e32 v13, 23, v13
	v_or_b32_e32 v10, v12, v10
	v_lshrrev_b32_e32 v12, 9, v15
	v_sub_u32_e32 v11, v11, v13
	v_or_b32_e32 v11, v12, v11
	s_mov_b32 s0, 0x3fc90fda
	v_mul_f32_e32 v12, 0x3fc90fda, v11
	v_fma_f32 v13, v11, s0, -v12
	v_fmac_f32_e32 v13, 0x33a22168, v11
	v_fmac_f32_e32 v13, 0x3fc90fda, v10
	v_lshrrev_b32_e32 v9, 30, v9
	v_add_f32_e32 v10, v12, v13
	v_add_u32_e32 v11, v19, v9
	s_andn2_saveexec_b64 s[0:1], s[16:17]
	s_cbranch_execnz .LBB11_18
	s_branch .LBB11_19
.LBB11_17:
	s_andn2_saveexec_b64 s[0:1], s[16:17]
	s_cbranch_execz .LBB11_19
.LBB11_18:
	s_mov_b32 s2, 0x3f22f983
	v_mul_f32_e64 v9, |v1|, s2
	v_rndne_f32_e32 v9, v9
	s_mov_b32 s2, 0xbfc90fda
	v_cvt_i32_f32_e32 v11, v9
	v_fma_f32 v10, v9, s2, |v1|
	v_fmac_f32_e32 v10, 0xb3a22168, v9
	v_fmac_f32_e32 v10, 0xa7c234c4, v9
.LBB11_19:
	s_or_b64 exec, exec, s[0:1]
	v_mul_lo_u32 v9, v4, s9
	v_mul_lo_u32 v14, v4, s12
	s_load_dwordx4 s[0:3], s[4:5], 0x0
	v_mad_u64_u32 v[12:13], s[4:5], v3, s13, v[0:1]
	v_sub_u32_e32 v5, v5, v9
	v_mul_lo_u32 v9, v5, s11
	s_waitcnt lgkmcnt(0)
	v_mov_b32_e32 v15, s1
	s_ashr_i32 s1, s21, 31
	v_mov_b32_e32 v18, 0x3c0881c4
	v_add3_u32 v12, v12, v14, v9
	v_ashrrev_i32_e32 v13, 31, v12
	v_lshlrev_b64 v[12:13], 2, v[12:13]
	v_mov_b32_e32 v19, 0xbe2aaa9d
	v_add_co_u32_e32 v12, vcc, s0, v12
	s_mov_b32 s0, s21
	v_addc_co_u32_e32 v13, vcc, v15, v13, vcc
	s_lshl_b64 s[0:1], s[0:1], 2
	v_mov_b32_e32 v9, s1
	v_add_co_u32_e32 v14, vcc, s0, v12
	v_addc_co_u32_e32 v15, vcc, v13, v9, vcc
	global_load_dword v16, v[12:13], off
	global_load_dword v17, v[14:15], off
	v_mul_f32_e32 v14, v7, v7
	v_mov_b32_e32 v15, 0x3c0881c4
	v_mad_u64_u32 v[12:13], s[4:5], v3, s20, v[0:1]
	v_mul_f32_e32 v0, v10, v10
	v_fmac_f32_e32 v18, 0xb94c1982, v14
	v_fmac_f32_e32 v15, 0xb94c1982, v0
	v_fma_f32 v3, v14, v18, v19
	v_mov_b32_e32 v13, 0xbab64f3b
	v_lshlrev_b32_e32 v18, 30, v11
	v_mov_b32_e32 v20, 0xbab64f3b
	v_fmac_f32_e32 v19, v0, v15
	v_fmac_f32_e32 v13, 0x37d75334, v14
	v_mov_b32_e32 v15, 0x3d2aabf7
	v_xor_b32_e32 v6, v6, v1
	v_and_b32_e32 v18, 0x80000000, v18
	v_fmac_f32_e32 v20, 0x37d75334, v0
	v_fma_f32 v13, v14, v13, v15
	v_xor_b32_e32 v6, v6, v18
	v_mov_b32_e32 v18, 0xbf000004
	v_mul_f32_e32 v3, v14, v3
	v_fmac_f32_e32 v15, v0, v20
	v_fma_f32 v13, v14, v13, v18
	v_fmac_f32_e32 v7, v7, v3
	v_and_b32_e32 v3, 1, v8
	v_fmac_f32_e32 v18, v0, v15
	v_fma_f32 v13, v14, v13, 1.0
	v_and_b32_e32 v11, 1, v11
	v_mul_f32_e32 v15, v0, v19
	v_cmp_eq_u32_e32 vcc, 0, v3
	v_mul_lo_u32 v4, v4, s15
	v_fmac_f32_e32 v10, v10, v15
	v_fma_f32 v0, v0, v18, 1.0
	v_cndmask_b32_e64 v3, -v7, v13, vcc
	v_mul_lo_u32 v5, v5, s14
	v_cmp_eq_u32_e32 vcc, 0, v11
	v_lshlrev_b32_e32 v8, 30, v8
	s_movk_i32 s1, 0x1f8
	v_cndmask_b32_e32 v0, v0, v10, vcc
	v_mov_b32_e32 v14, 0x7fc00000
	v_and_b32_e32 v8, 0x80000000, v8
	v_xor_b32_e32 v0, v6, v0
	v_cmp_class_f32_e64 vcc, v1, s1
	v_xor_b32_e32 v3, v8, v3
	v_cndmask_b32_e32 v0, v14, v0, vcc
	v_cndmask_b32_e32 v1, v14, v3, vcc
	v_mul_f32_e32 v8, v2, v0
	v_add3_u32 v0, v12, v4, v5
	v_mul_f32_e32 v6, v2, v1
	v_ashrrev_i32_e32 v1, 31, v0
	v_lshlrev_b64 v[0:1], 2, v[0:1]
	v_mov_b32_e32 v7, s3
	v_add_co_u32_e32 v0, vcc, s2, v0
	v_addc_co_u32_e32 v1, vcc, v7, v1, vcc
	v_add_co_u32_e32 v2, vcc, s0, v0
	v_addc_co_u32_e32 v3, vcc, v1, v9, vcc
	s_waitcnt vmcnt(1)
	v_mul_f32_e32 v4, v16, v8
	s_waitcnt vmcnt(0)
	v_mul_f32_e32 v5, v17, v8
	v_fma_f32 v5, v6, v16, -v5
	v_fmac_f32_e32 v4, v6, v17
	global_store_dword v[0:1], v5, off
	global_store_dword v[2:3], v4, off
.LBB11_20:
	s_endpgm
	.section	.rodata,"a",@progbits
	.p2align	6, 0x0
	.amdhsa_kernel _ZL11rope_visionILb1ELb1EfEvPKT1_PS0_iiiiiiiiiiPKifff14rope_corr_dimsfPKf14mrope_sections
		.amdhsa_group_segment_fixed_size 0
		.amdhsa_private_segment_fixed_size 0
		.amdhsa_kernarg_size 368
		.amdhsa_user_sgpr_count 6
		.amdhsa_user_sgpr_private_segment_buffer 1
		.amdhsa_user_sgpr_dispatch_ptr 0
		.amdhsa_user_sgpr_queue_ptr 0
		.amdhsa_user_sgpr_kernarg_segment_ptr 1
		.amdhsa_user_sgpr_dispatch_id 0
		.amdhsa_user_sgpr_flat_scratch_init 0
		.amdhsa_user_sgpr_private_segment_size 0
		.amdhsa_uses_dynamic_stack 0
		.amdhsa_system_sgpr_private_segment_wavefront_offset 0
		.amdhsa_system_sgpr_workgroup_id_x 1
		.amdhsa_system_sgpr_workgroup_id_y 1
		.amdhsa_system_sgpr_workgroup_id_z 0
		.amdhsa_system_sgpr_workgroup_info 0
		.amdhsa_system_vgpr_workitem_id 1
		.amdhsa_next_free_vgpr 21
		.amdhsa_next_free_sgpr 26
		.amdhsa_reserve_vcc 1
		.amdhsa_reserve_flat_scratch 0
		.amdhsa_float_round_mode_32 0
		.amdhsa_float_round_mode_16_64 0
		.amdhsa_float_denorm_mode_32 3
		.amdhsa_float_denorm_mode_16_64 3
		.amdhsa_dx10_clamp 1
		.amdhsa_ieee_mode 1
		.amdhsa_fp16_overflow 0
		.amdhsa_exception_fp_ieee_invalid_op 0
		.amdhsa_exception_fp_denorm_src 0
		.amdhsa_exception_fp_ieee_div_zero 0
		.amdhsa_exception_fp_ieee_overflow 0
		.amdhsa_exception_fp_ieee_underflow 0
		.amdhsa_exception_fp_ieee_inexact 0
		.amdhsa_exception_int_div_zero 0
	.end_amdhsa_kernel
	.section	.text._ZL11rope_visionILb1ELb1EfEvPKT1_PS0_iiiiiiiiiiPKifff14rope_corr_dimsfPKf14mrope_sections,"axG",@progbits,_ZL11rope_visionILb1ELb1EfEvPKT1_PS0_iiiiiiiiiiPKifff14rope_corr_dimsfPKf14mrope_sections,comdat
.Lfunc_end11:
	.size	_ZL11rope_visionILb1ELb1EfEvPKT1_PS0_iiiiiiiiiiPKifff14rope_corr_dimsfPKf14mrope_sections, .Lfunc_end11-_ZL11rope_visionILb1ELb1EfEvPKT1_PS0_iiiiiiiiiiPKifff14rope_corr_dimsfPKf14mrope_sections
                                        ; -- End function
	.set _ZL11rope_visionILb1ELb1EfEvPKT1_PS0_iiiiiiiiiiPKifff14rope_corr_dimsfPKf14mrope_sections.num_vgpr, 21
	.set _ZL11rope_visionILb1ELb1EfEvPKT1_PS0_iiiiiiiiiiPKifff14rope_corr_dimsfPKf14mrope_sections.num_agpr, 0
	.set _ZL11rope_visionILb1ELb1EfEvPKT1_PS0_iiiiiiiiiiPKifff14rope_corr_dimsfPKf14mrope_sections.numbered_sgpr, 26
	.set _ZL11rope_visionILb1ELb1EfEvPKT1_PS0_iiiiiiiiiiPKifff14rope_corr_dimsfPKf14mrope_sections.num_named_barrier, 0
	.set _ZL11rope_visionILb1ELb1EfEvPKT1_PS0_iiiiiiiiiiPKifff14rope_corr_dimsfPKf14mrope_sections.private_seg_size, 0
	.set _ZL11rope_visionILb1ELb1EfEvPKT1_PS0_iiiiiiiiiiPKifff14rope_corr_dimsfPKf14mrope_sections.uses_vcc, 1
	.set _ZL11rope_visionILb1ELb1EfEvPKT1_PS0_iiiiiiiiiiPKifff14rope_corr_dimsfPKf14mrope_sections.uses_flat_scratch, 0
	.set _ZL11rope_visionILb1ELb1EfEvPKT1_PS0_iiiiiiiiiiPKifff14rope_corr_dimsfPKf14mrope_sections.has_dyn_sized_stack, 0
	.set _ZL11rope_visionILb1ELb1EfEvPKT1_PS0_iiiiiiiiiiPKifff14rope_corr_dimsfPKf14mrope_sections.has_recursion, 0
	.set _ZL11rope_visionILb1ELb1EfEvPKT1_PS0_iiiiiiiiiiPKifff14rope_corr_dimsfPKf14mrope_sections.has_indirect_call, 0
	.section	.AMDGPU.csdata,"",@progbits
; Kernel info:
; codeLenInByte = 3840
; TotalNumSgprs: 30
; NumVgprs: 21
; ScratchSize: 0
; MemoryBound: 0
; FloatMode: 240
; IeeeMode: 1
; LDSByteSize: 0 bytes/workgroup (compile time only)
; SGPRBlocks: 3
; VGPRBlocks: 5
; NumSGPRsForWavesPerEU: 30
; NumVGPRsForWavesPerEU: 21
; Occupancy: 10
; WaveLimiterHint : 0
; COMPUTE_PGM_RSRC2:SCRATCH_EN: 0
; COMPUTE_PGM_RSRC2:USER_SGPR: 6
; COMPUTE_PGM_RSRC2:TRAP_HANDLER: 0
; COMPUTE_PGM_RSRC2:TGID_X_EN: 1
; COMPUTE_PGM_RSRC2:TGID_Y_EN: 1
; COMPUTE_PGM_RSRC2:TGID_Z_EN: 0
; COMPUTE_PGM_RSRC2:TIDIG_COMP_CNT: 1
	.section	.text._ZL11rope_visionILb1ELb0E6__halfEvPKT1_PS1_iiiiiiiiiiPKifff14rope_corr_dimsfPKf14mrope_sections,"axG",@progbits,_ZL11rope_visionILb1ELb0E6__halfEvPKT1_PS1_iiiiiiiiiiPKifff14rope_corr_dimsfPKf14mrope_sections,comdat
	.globl	_ZL11rope_visionILb1ELb0E6__halfEvPKT1_PS1_iiiiiiiiiiPKifff14rope_corr_dimsfPKf14mrope_sections ; -- Begin function _ZL11rope_visionILb1ELb0E6__halfEvPKT1_PS1_iiiiiiiiiiPKifff14rope_corr_dimsfPKf14mrope_sections
	.p2align	8
	.type	_ZL11rope_visionILb1ELb0E6__halfEvPKT1_PS1_iiiiiiiiiiPKifff14rope_corr_dimsfPKf14mrope_sections,@function
_ZL11rope_visionILb1ELb0E6__halfEvPKT1_PS1_iiiiiiiiiiPKifff14rope_corr_dimsfPKf14mrope_sections: ; @_ZL11rope_visionILb1ELb0E6__halfEvPKT1_PS1_iiiiiiiiiiPKifff14rope_corr_dimsfPKf14mrope_sections
; %bb.0:
	s_load_dword s0, s[4:5], 0x7c
	s_load_dwordx8 s[8:15], s[4:5], 0x10
	s_add_u32 s2, s4, 0x70
	s_addc_u32 s3, s5, 0
	s_waitcnt lgkmcnt(0)
	s_lshr_b32 s0, s0, 16
	s_mul_i32 s7, s7, s0
	v_add_lshl_u32 v1, s7, v1, 1
	v_cmp_gt_i32_e32 vcc, s8, v1
	s_and_saveexec_b64 s[0:1], vcc
	s_cbranch_execz .LBB12_20
; %bb.1:
	s_mul_i32 s7, s10, s9
	s_abs_i32 s8, s7
	v_cvt_f32_u32_e32 v2, s8
	s_load_dwordx2 s[0:1], s[4:5], 0x60
	s_load_dword s16, s[2:3], 0xc
	s_sub_i32 s3, 0, s8
	v_cvt_f32_u32_e32 v3, s9
	v_rcp_iflag_f32_e32 v2, v2
	s_sub_i32 s2, 0, s9
	s_waitcnt lgkmcnt(0)
	s_add_i32 s1, s1, s0
	v_rcp_iflag_f32_e32 v3, v3
	v_mul_f32_e32 v2, 0x4f7ffffe, v2
	v_cvt_u32_f32_e32 v2, v2
	s_mov_b64 s[24:25], -1
	v_mul_f32_e32 v3, 0x4f7ffffe, v3
	v_mul_lo_u32 v4, s3, v2
	s_and_b32 s3, s16, 0xffff
	s_mul_i32 s6, s6, s3
	v_add_u32_e32 v0, s6, v0
	v_mul_hi_u32 v4, v2, v4
	v_sub_u32_e32 v5, 0, v0
	v_max_i32_e32 v5, v0, v5
	s_load_dwordx2 s[20:21], s[4:5], 0x30
	s_load_dwordx4 s[16:19], s[4:5], 0x40
	v_add_u32_e32 v2, v2, v4
	v_mul_hi_u32 v2, v5, v2
	v_cvt_u32_f32_e32 v4, v3
	v_xor_b32_e32 v3, s7, v0
	v_ashrrev_i32_e32 v3, 31, v3
	v_mul_lo_u32 v6, v2, s8
	v_add_u32_e32 v8, 1, v2
	v_mul_lo_u32 v7, s2, v4
	s_abs_i32 s2, s1
	v_sub_u32_e32 v5, v5, v6
	v_cmp_le_u32_e32 vcc, s8, v5
	v_subrev_u32_e32 v6, s8, v5
	v_cndmask_b32_e32 v2, v2, v8, vcc
	v_cndmask_b32_e32 v5, v5, v6, vcc
	v_add_u32_e32 v6, 1, v2
	v_cmp_le_u32_e32 vcc, s8, v5
	v_cndmask_b32_e32 v2, v2, v6, vcc
	v_xor_b32_e32 v2, v2, v3
	v_sub_u32_e32 v3, v2, v3
	v_mul_lo_u32 v2, s7, v3
	v_mul_hi_u32 v6, v4, v7
	v_cvt_f32_u32_e32 v7, s2
	s_sub_i32 s3, 0, s2
	v_sub_u32_e32 v5, v0, v2
	v_add_u32_e32 v0, v4, v6
	v_rcp_iflag_f32_e32 v2, v7
	v_mul_hi_u32 v0, v5, v0
	s_load_dwordx2 s[6:7], s[4:5], 0x50
	v_mul_f32_e32 v2, 0x4f7ffffe, v2
	v_cvt_u32_f32_e32 v2, v2
	v_mul_lo_u32 v4, v0, s9
	v_add_u32_e32 v7, 1, v0
	v_mul_lo_u32 v6, s3, v2
	v_sub_u32_e32 v4, v5, v4
	v_cmp_le_u32_e32 vcc, s9, v4
	v_cndmask_b32_e32 v7, v0, v7, vcc
	v_mul_hi_u32 v6, v2, v6
	v_ashrrev_i32_e32 v0, 1, v1
	v_sub_u32_e32 v8, 0, v0
	v_max_i32_e32 v8, v0, v8
	v_add_u32_e32 v2, v2, v6
	v_mul_hi_u32 v2, v8, v2
	v_subrev_u32_e32 v6, s9, v4
	v_cndmask_b32_e32 v4, v4, v6, vcc
	v_add_u32_e32 v6, 1, v7
	v_mul_lo_u32 v2, v2, s2
	v_cmp_le_u32_e32 vcc, s9, v4
	v_cndmask_b32_e32 v4, v7, v6, vcc
	v_ashrrev_i32_e32 v1, 31, v1
	v_sub_u32_e32 v2, v8, v2
	v_subrev_u32_e32 v6, s2, v2
	v_cmp_le_u32_e32 vcc, s2, v2
	v_cndmask_b32_e32 v2, v2, v6, vcc
	v_subrev_u32_e32 v6, s2, v2
	v_cmp_le_u32_e32 vcc, s2, v2
	v_cndmask_b32_e32 v2, v2, v6, vcc
	v_xor_b32_e32 v2, v2, v1
	v_sub_u32_e32 v7, v2, v1
	v_cmp_le_i32_e32 vcc, s0, v7
	v_mov_b32_e32 v1, v4
	s_and_saveexec_b64 s[2:3], vcc
	s_cbranch_execz .LBB12_6
; %bb.2:
	s_cmp_gt_i32 s1, -1
	s_cbranch_scc0 .LBB12_4
; %bb.3:
	v_subrev_u32_e32 v7, s0, v7
	v_add_u32_e32 v1, s10, v4
	s_mov_b64 s[0:1], -1
	s_branch .LBB12_5
.LBB12_4:
	s_mov_b64 s[0:1], 0
                                        ; implicit-def: $vgpr7
                                        ; implicit-def: $vgpr1
.LBB12_5:
	s_orn2_b64 s[24:25], s[0:1], exec
.LBB12_6:
	s_or_b64 exec, exec, s[2:3]
	v_mov_b32_e32 v6, 0
	s_and_saveexec_b64 s[22:23], s[24:25]
	s_cbranch_execz .LBB12_8
; %bb.7:
	s_load_dwordx2 s[0:1], s[4:5], 0x38
	v_mov_b32_e32 v2, 0
	v_lshlrev_b64 v[1:2], 2, v[1:2]
	v_mov_b32_e32 v9, 0x3e91f4c4
	v_mov_b32_e32 v10, 0x3ecccdef
	s_waitcnt lgkmcnt(0)
	v_mov_b32_e32 v6, s1
	v_add_co_u32_e32 v1, vcc, s0, v1
	v_addc_co_u32_e32 v2, vcc, v6, v2, vcc
	global_load_dword v6, v[1:2], off
	v_cvt_f32_i32_e32 v1, v7
	v_cmp_neq_f32_e64 vcc, s7, 1.0
	v_mov_b32_e32 v7, s7
	s_mov_b32 s0, 0x3f2aaaab
	v_cndmask_b32_e32 v2, 1.0, v1, vcc
	v_cmp_neq_f32_e32 vcc, 0, v2
	v_cndmask_b32_e32 v1, 1.0, v7, vcc
	v_frexp_mant_f32_e64 v11, |v1|
	v_cmp_gt_f32_e32 vcc, s0, v11
	v_cvt_f64_f32_e64 v[7:8], |v1|
	v_cndmask_b32_e64 v12, 1.0, 2.0, vcc
	v_mul_f32_e32 v11, v11, v12
	v_add_f32_e32 v13, 1.0, v11
	v_rcp_f32_e32 v14, v13
	v_frexp_exp_i32_f64_e32 v7, v[7:8]
	v_add_f32_e32 v12, -1.0, v11
	v_add_f32_e32 v15, -1.0, v13
	v_sub_f32_e32 v8, v11, v15
	v_mul_f32_e32 v11, v12, v14
	v_mul_f32_e32 v15, v13, v11
	v_fma_f32 v13, v11, v13, -v15
	v_fmac_f32_e32 v13, v11, v8
	v_add_f32_e32 v8, v15, v13
	v_subbrev_co_u32_e32 v7, vcc, 0, v7, vcc
	v_sub_f32_e32 v16, v12, v8
	v_sub_f32_e32 v15, v8, v15
	v_cvt_f32_i32_e32 v7, v7
	v_sub_f32_e32 v12, v12, v16
	v_sub_f32_e32 v13, v15, v13
	;; [unrolled: 1-line block ×3, first 2 shown]
	v_add_f32_e32 v8, v13, v8
	v_add_f32_e32 v8, v16, v8
	s_mov_b32 s1, 0x3f317218
	v_mul_f32_e32 v12, 0x3f317218, v7
	v_mul_f32_e32 v8, v14, v8
	v_fma_f32 v13, v7, s1, -v12
	v_add_f32_e32 v14, v11, v8
	v_fmac_f32_e32 v13, 0xb102e308, v7
	v_sub_f32_e32 v7, v14, v11
	v_mul_f32_e32 v11, v14, v14
	v_sub_f32_e32 v7, v8, v7
	v_fma_f32 v8, v14, v14, -v11
	v_add_f32_e32 v15, v7, v7
	v_fmac_f32_e32 v8, v14, v15
	v_add_f32_e32 v15, v11, v8
	v_fmac_f32_e32 v9, 0x3e76c4e1, v15
	v_mul_f32_e32 v17, v14, v15
	v_sub_f32_e32 v11, v15, v11
	v_fmac_f32_e32 v10, v15, v9
	v_fma_f32 v9, v15, v14, -v17
	v_ldexp_f32 v16, v7, 1
	v_sub_f32_e32 v8, v8, v11
	v_fmac_f32_e32 v9, v15, v7
	v_mul_f32_e32 v7, v15, v10
	v_fmac_f32_e32 v9, v8, v14
	v_fma_f32 v11, v15, v10, -v7
	v_add_f32_e32 v15, v17, v9
	v_fmac_f32_e32 v11, v8, v10
	v_sub_f32_e32 v8, v15, v17
	v_add_f32_e32 v10, v7, v11
	v_sub_f32_e32 v8, v9, v8
	v_add_f32_e32 v9, 0x3f2aaaaa, v10
	v_sub_f32_e32 v7, v10, v7
	v_sub_f32_e32 v7, v11, v7
	v_add_f32_e32 v11, 0xbf2aaaaa, v9
	v_add_f32_e32 v7, 0x31739010, v7
	v_sub_f32_e32 v10, v10, v11
	v_add_f32_e32 v7, v7, v10
	v_add_f32_e32 v10, v9, v7
	v_sub_f32_e32 v9, v9, v10
	v_mul_f32_e32 v11, v15, v10
	v_add_f32_e32 v7, v7, v9
	v_fma_f32 v9, v15, v10, -v11
	v_fmac_f32_e32 v9, v15, v7
	v_fmac_f32_e32 v9, v8, v10
	v_add_f32_e32 v8, v12, v13
	v_sub_f32_e32 v10, v8, v12
	v_add_f32_e32 v12, v11, v9
	v_ldexp_f32 v7, v14, 1
	v_sub_f32_e32 v11, v12, v11
	v_sub_f32_e32 v9, v9, v11
	v_add_f32_e32 v11, v7, v12
	v_sub_f32_e32 v7, v11, v7
	v_sub_f32_e32 v7, v12, v7
	v_add_f32_e32 v9, v16, v9
	v_add_f32_e32 v7, v9, v7
	;; [unrolled: 1-line block ×3, first 2 shown]
	v_sub_f32_e32 v11, v9, v11
	v_sub_f32_e32 v7, v7, v11
	v_add_f32_e32 v11, v8, v9
	v_sub_f32_e32 v12, v11, v8
	v_sub_f32_e32 v10, v13, v10
	;; [unrolled: 1-line block ×5, first 2 shown]
	v_add_f32_e32 v8, v9, v8
	v_add_f32_e32 v9, v10, v7
	v_sub_f32_e32 v12, v9, v10
	v_sub_f32_e32 v13, v9, v12
	v_add_f32_e32 v8, v9, v8
	v_sub_f32_e32 v10, v10, v13
	v_sub_f32_e32 v7, v7, v12
	v_add_f32_e32 v9, v11, v8
	v_add_f32_e32 v7, v7, v10
	v_sub_f32_e32 v10, v9, v11
	v_sub_f32_e32 v8, v8, v10
	v_add_f32_e32 v7, v7, v8
	v_add_f32_e32 v8, v9, v7
	v_sub_f32_e32 v9, v8, v9
	v_sub_f32_e32 v7, v7, v9
	v_mul_f32_e32 v9, v2, v8
	v_fma_f32 v8, v2, v8, -v9
	v_fmac_f32_e32 v8, v2, v7
	s_movk_i32 s2, 0x204
	v_add_f32_e32 v7, v9, v8
	v_cmp_class_f32_e64 vcc, v9, s2
	v_sub_f32_e32 v10, v7, v9
	v_cndmask_b32_e32 v7, v7, v9, vcc
	s_mov_b32 s1, 0x42b17218
	v_mov_b32_e32 v9, 0x37000000
	v_cmp_eq_f32_e32 vcc, s1, v7
	v_cndmask_b32_e32 v9, 0, v9, vcc
	v_sub_f32_e32 v8, v8, v10
	v_sub_f32_e32 v10, v7, v9
	s_mov_b32 s3, 0x3fb8aa3b
	v_mul_f32_e32 v11, 0x3fb8aa3b, v10
	v_fma_f32 v12, v10, s3, -v11
	v_rndne_f32_e32 v13, v11
	v_fmac_f32_e32 v12, 0x32a5705f, v10
	v_sub_f32_e32 v11, v11, v13
	v_add_f32_e32 v11, v11, v12
	v_exp_f32_e32 v11, v11
	v_cvt_i32_f32_e32 v12, v13
	s_mov_b32 s0, 0x7f800000
	v_cmp_neq_f32_e64 vcc, |v7|, s0
	s_mov_b32 s0, 0xc2ce8ed0
	v_cndmask_b32_e32 v7, 0, v8, vcc
	v_ldexp_f32 v8, v11, v12
	v_cmp_ngt_f32_e32 vcc, s0, v10
	v_add_f32_e32 v7, v9, v7
	v_cndmask_b32_e32 v8, 0, v8, vcc
	v_mov_b32_e32 v9, 0x7f800000
	v_cmp_nlt_f32_e32 vcc, s1, v10
	v_cndmask_b32_e32 v8, v9, v8, vcc
	v_fma_f32 v7, v8, v7, v8
	v_cmp_class_f32_e64 vcc, v8, s2
	v_cndmask_b32_e32 v7, v7, v8, vcc
	v_trunc_f32_e32 v8, v2
	v_cmp_eq_f32_e32 vcc, v8, v2
	v_mul_f32_e32 v8, 0.5, v2
	v_trunc_f32_e32 v11, v8
	v_cmp_neq_f32_e64 s[0:1], v11, v8
	s_and_b64 s[0:1], vcc, s[0:1]
	v_cndmask_b32_e64 v8, 1.0, v1, s[0:1]
	s_brev_b32 s7, -2
	v_mov_b32_e32 v10, 0x7fc00000
	v_bfi_b32 v7, s7, v7, v8
	v_cndmask_b32_e32 v8, v10, v7, vcc
	v_cmp_gt_f32_e32 vcc, 0, v1
	v_cndmask_b32_e32 v7, v7, v8, vcc
	v_cmp_class_f32_e64 s[24:25], v1, s2
	v_cmp_eq_f32_e32 vcc, 0, v1
	v_cmp_gt_f32_e64 s[2:3], 0, v2
	s_xor_b64 s[2:3], s[2:3], vcc
	s_waitcnt vmcnt(0)
	v_cvt_f32_i32_e32 v6, v6
	v_cndmask_b32_e64 v2, v9, 0, s[2:3]
	v_cndmask_b32_e64 v8, 0, v1, s[0:1]
	v_bfi_b32 v2, s7, v2, v8
	s_or_b64 vcc, vcc, s[24:25]
	v_cndmask_b32_e32 v2, v7, v2, vcc
	v_cmp_o_f32_e32 vcc, v1, v1
	v_cndmask_b32_e32 v1, v10, v2, vcc
	v_mul_f32_e32 v6, v1, v6
.LBB12_8:
	s_or_b64 exec, exec, s[22:23]
	s_waitcnt lgkmcnt(0)
	v_cmp_eq_f32_e64 s[0:1], s17, 0
	v_mul_f32_e32 v1, s16, v6
	s_and_b64 vcc, exec, s[0:1]
	s_cbranch_vccnz .LBB12_10
; %bb.9:
	v_cvt_f32_i32_e32 v2, v0
	v_div_scale_f32 v8, s[0:1], s16, s16, 1.0
	v_mov_b32_e32 v7, s19
	v_sub_f32_e32 v7, s6, v7
	v_subrev_f32_e32 v2, s19, v2
	v_max_f32_e32 v7, 0x3a83126f, v7
	v_div_scale_f32 v9, s[0:1], v7, v7, v2
	v_div_scale_f32 v10, s[0:1], 1.0, s16, 1.0
	v_div_scale_f32 v11, vcc, v2, v7, v2
	s_mov_b32 s2, 0x3f317217
	s_mov_b32 s3, 0x7f800000
	v_rcp_f32_e32 v12, v8
	v_fma_f32 v13, -v8, v12, 1.0
	v_fmac_f32_e32 v12, v13, v12
	v_rcp_f32_e32 v14, v9
	v_mul_f32_e32 v13, v10, v12
	v_fma_f32 v15, -v8, v13, v10
	v_fmac_f32_e32 v13, v15, v12
	v_fma_f32 v15, -v9, v14, 1.0
	v_fmac_f32_e32 v14, v15, v14
	v_fma_f32 v8, -v8, v13, v10
	v_mul_f32_e32 v10, v11, v14
	v_fma_f32 v15, -v9, v10, v11
	v_fmac_f32_e32 v10, v15, v14
	v_fma_f32 v9, -v9, v10, v11
	v_div_fmas_f32 v9, v9, v14, v10
	s_mov_b64 vcc, s[0:1]
	v_div_fmas_f32 v8, v8, v12, v13
	s_mov_b32 s0, 0x800000
	v_mov_b32_e32 v10, 0x41b17218
	v_div_fixup_f32 v2, v9, v7, v2 clamp
	v_sub_f32_e32 v2, 1.0, v2
	v_div_fixup_f32 v7, v8, s16, 1.0
	v_cmp_gt_f32_e32 vcc, s0, v7
	s_and_b64 s[0:1], vcc, exec
	s_cselect_b32 s0, 32, 0
	v_ldexp_f32 v7, v7, s0
	v_log_f32_e32 v7, v7
	v_mul_f32_e32 v8, s17, v2
	v_fma_f32 v2, -s17, v2, 1.0
	v_mul_f32_e32 v1, v2, v1
	v_mul_f32_e32 v2, 0x3f317217, v7
	v_fma_f32 v2, v7, s2, -v2
	v_fmac_f32_e32 v2, 0x3377d1cf, v7
	v_cndmask_b32_e32 v9, 0, v10, vcc
	v_fmac_f32_e32 v2, 0x3f317217, v7
	v_cmp_lt_f32_e64 vcc, |v7|, s3
	v_cndmask_b32_e32 v2, v7, v2, vcc
	v_sub_f32_e32 v2, v2, v9
	s_mov_b32 s0, 0x3dcccccd
	v_fma_f32 v2, v2, s0, 1.0
	v_fmac_f32_e32 v1, v8, v6
	v_mul_f32_e32 v2, s18, v2
	s_branch .LBB12_11
.LBB12_10:
	v_mov_b32_e32 v2, s18
.LBB12_11:
	v_and_b32_e32 v6, 0x7fffffff, v1
	s_brev_b32 s0, 18
	v_cmp_nlt_f32_e64 s[16:17], |v1|, s0
	v_lshrrev_b32_e32 v9, 23, v6
                                        ; implicit-def: $vgpr8
                                        ; implicit-def: $vgpr7
	s_and_saveexec_b64 s[0:1], s[16:17]
	s_xor_b64 s[18:19], exec, s[0:1]
	s_cbranch_execz .LBB12_13
; %bb.12:
	v_and_b32_e32 v7, 0x7fffff, v6
	v_or_b32_e32 v18, 0x800000, v7
	s_mov_b32 s0, 0xfe5163ab
	v_mad_u64_u32 v[7:8], s[0:1], v18, s0, 0
	v_mov_b32_e32 v11, 0
	s_mov_b32 s0, 0x3c439041
	v_mov_b32_e32 v10, v8
	v_mad_u64_u32 v[12:13], s[0:1], v18, s0, v[10:11]
	s_mov_b32 s0, 0xdb629599
	v_add_u32_e32 v8, 0xffffff88, v9
	v_mov_b32_e32 v10, v13
	v_mad_u64_u32 v[13:14], s[0:1], v18, s0, v[10:11]
	s_mov_b32 s0, 0xf534ddc0
	v_not_b32_e32 v17, 63
	v_mov_b32_e32 v10, v14
	v_mad_u64_u32 v[14:15], s[0:1], v18, s0, v[10:11]
	s_mov_b32 s0, 0xfc2757d1
	v_cmp_lt_u32_e32 vcc, 63, v8
	v_mov_b32_e32 v10, v15
	v_mad_u64_u32 v[15:16], s[0:1], v18, s0, v[10:11]
	v_cndmask_b32_e32 v10, 0, v17, vcc
	v_add_u32_e32 v8, v10, v8
	v_mov_b32_e32 v10, v16
	s_mov_b32 s0, 0x4e441529
	v_mad_u64_u32 v[16:17], s[0:1], v18, s0, v[10:11]
	v_not_b32_e32 v19, 31
	v_cmp_lt_u32_e64 s[0:1], 31, v8
	v_cndmask_b32_e64 v10, 0, v19, s[0:1]
	v_add_u32_e32 v8, v10, v8
	v_mov_b32_e32 v10, v17
	s_mov_b32 s2, 0xa2f9836e
	v_mad_u64_u32 v[10:11], s[2:3], v18, s2, v[10:11]
	v_cmp_lt_u32_e64 s[2:3], 31, v8
	v_cndmask_b32_e64 v17, 0, v19, s[2:3]
	v_add_u32_e32 v8, v17, v8
	v_cndmask_b32_e32 v17, v16, v14, vcc
	v_cndmask_b32_e32 v10, v10, v15, vcc
	v_cndmask_b32_e32 v11, v11, v16, vcc
	v_cndmask_b32_e64 v18, v10, v17, s[0:1]
	v_cndmask_b32_e64 v10, v11, v10, s[0:1]
	v_cndmask_b32_e32 v11, v15, v13, vcc
	v_cndmask_b32_e64 v15, v17, v11, s[0:1]
	v_cndmask_b32_e64 v10, v10, v18, s[2:3]
	;; [unrolled: 1-line block ×3, first 2 shown]
	v_sub_u32_e32 v17, 32, v8
	v_alignbit_b32 v18, v10, v16, v17
	v_cmp_eq_u32_e64 s[6:7], 0, v8
	v_cndmask_b32_e64 v8, v18, v10, s[6:7]
	v_cndmask_b32_e32 v10, v14, v12, vcc
	v_cndmask_b32_e64 v11, v11, v10, s[0:1]
	v_cndmask_b32_e64 v12, v15, v11, s[2:3]
	v_alignbit_b32 v14, v16, v12, v17
	v_cndmask_b32_e32 v7, v13, v7, vcc
	v_cndmask_b32_e64 v14, v14, v16, s[6:7]
	v_bfe_u32 v18, v8, 29, 1
	v_cndmask_b32_e64 v7, v10, v7, s[0:1]
	v_alignbit_b32 v15, v8, v14, 30
	v_sub_u32_e32 v19, 0, v18
	v_cndmask_b32_e64 v7, v11, v7, s[2:3]
	v_xor_b32_e32 v15, v15, v19
	v_alignbit_b32 v10, v12, v7, v17
	v_cndmask_b32_e64 v10, v10, v12, s[6:7]
	v_ffbh_u32_e32 v12, v15
	v_alignbit_b32 v11, v14, v10, 30
	v_min_u32_e32 v12, 32, v12
	v_alignbit_b32 v7, v10, v7, 30
	v_xor_b32_e32 v11, v11, v19
	v_sub_u32_e32 v13, 31, v12
	v_xor_b32_e32 v7, v7, v19
	v_alignbit_b32 v14, v15, v11, v13
	v_alignbit_b32 v7, v11, v7, v13
	;; [unrolled: 1-line block ×3, first 2 shown]
	v_ffbh_u32_e32 v11, v10
	v_min_u32_e32 v11, 32, v11
	v_lshrrev_b32_e32 v16, 29, v8
	v_not_b32_e32 v13, v11
	v_alignbit_b32 v7, v10, v7, v13
	v_lshlrev_b32_e32 v10, 31, v16
	v_or_b32_e32 v13, 0x33000000, v10
	v_add_lshl_u32 v11, v11, v12, 23
	v_lshrrev_b32_e32 v7, 9, v7
	v_sub_u32_e32 v11, v13, v11
	v_or_b32_e32 v10, 0.5, v10
	v_lshlrev_b32_e32 v12, 23, v12
	v_or_b32_e32 v7, v11, v7
	v_lshrrev_b32_e32 v11, 9, v14
	v_sub_u32_e32 v10, v10, v12
	v_or_b32_e32 v10, v11, v10
	s_mov_b32 s0, 0x3fc90fda
	v_mul_f32_e32 v11, 0x3fc90fda, v10
	v_fma_f32 v12, v10, s0, -v11
	v_fmac_f32_e32 v12, 0x33a22168, v10
	v_fmac_f32_e32 v12, 0x3fc90fda, v7
	v_lshrrev_b32_e32 v8, 30, v8
	v_add_f32_e32 v7, v11, v12
	v_add_u32_e32 v8, v18, v8
	s_andn2_saveexec_b64 s[0:1], s[18:19]
	s_cbranch_execz .LBB12_15
	s_branch .LBB12_14
.LBB12_13:
	s_andn2_saveexec_b64 s[0:1], s[18:19]
	s_cbranch_execz .LBB12_15
.LBB12_14:
	s_mov_b32 s2, 0x3f22f983
	v_mul_f32_e64 v7, |v1|, s2
	v_rndne_f32_e32 v10, v7
	s_mov_b32 s2, 0xbfc90fda
	v_cvt_i32_f32_e32 v8, v10
	v_fma_f32 v7, v10, s2, |v1|
	v_fmac_f32_e32 v7, 0xb3a22168, v10
	v_fmac_f32_e32 v7, 0xa7c234c4, v10
.LBB12_15:
	s_or_b64 exec, exec, s[0:1]
                                        ; implicit-def: $vgpr11
                                        ; implicit-def: $vgpr10
	s_and_saveexec_b64 s[0:1], s[16:17]
	s_xor_b64 s[16:17], exec, s[0:1]
	s_cbranch_execz .LBB12_17
; %bb.16:
	v_and_b32_e32 v10, 0x7fffff, v6
	v_or_b32_e32 v19, 0x800000, v10
	s_mov_b32 s0, 0xfe5163ab
	v_mad_u64_u32 v[10:11], s[0:1], v19, s0, 0
	v_mov_b32_e32 v12, 0
	s_mov_b32 s0, 0x3c439041
	v_mad_u64_u32 v[13:14], s[0:1], v19, s0, v[11:12]
	s_mov_b32 s0, 0xdb629599
	v_add_u32_e32 v9, 0xffffff88, v9
	v_mov_b32_e32 v11, v14
	v_mad_u64_u32 v[14:15], s[0:1], v19, s0, v[11:12]
	s_mov_b32 s0, 0xf534ddc0
	v_not_b32_e32 v18, 63
	v_mov_b32_e32 v11, v15
	v_mad_u64_u32 v[15:16], s[0:1], v19, s0, v[11:12]
	s_mov_b32 s0, 0xfc2757d1
	v_cmp_lt_u32_e32 vcc, 63, v9
	v_mov_b32_e32 v11, v16
	v_mad_u64_u32 v[16:17], s[0:1], v19, s0, v[11:12]
	v_cndmask_b32_e32 v11, 0, v18, vcc
	v_add_u32_e32 v9, v11, v9
	v_mov_b32_e32 v11, v17
	s_mov_b32 s0, 0x4e441529
	v_mad_u64_u32 v[17:18], s[0:1], v19, s0, v[11:12]
	v_not_b32_e32 v20, 31
	v_cmp_lt_u32_e64 s[0:1], 31, v9
	v_cndmask_b32_e64 v11, 0, v20, s[0:1]
	v_add_u32_e32 v9, v11, v9
	v_mov_b32_e32 v11, v18
	s_mov_b32 s2, 0xa2f9836e
	v_mad_u64_u32 v[11:12], s[2:3], v19, s2, v[11:12]
	v_cmp_lt_u32_e64 s[2:3], 31, v9
	v_cndmask_b32_e64 v18, 0, v20, s[2:3]
	v_add_u32_e32 v9, v18, v9
	v_cndmask_b32_e32 v18, v17, v15, vcc
	v_cndmask_b32_e32 v11, v11, v16, vcc
	;; [unrolled: 1-line block ×3, first 2 shown]
	v_cndmask_b32_e64 v19, v11, v18, s[0:1]
	v_cndmask_b32_e64 v11, v12, v11, s[0:1]
	v_cndmask_b32_e32 v12, v16, v14, vcc
	v_cndmask_b32_e64 v16, v18, v12, s[0:1]
	v_cndmask_b32_e64 v11, v11, v19, s[2:3]
	;; [unrolled: 1-line block ×3, first 2 shown]
	v_sub_u32_e32 v18, 32, v9
	v_alignbit_b32 v19, v11, v17, v18
	v_cmp_eq_u32_e64 s[6:7], 0, v9
	v_cndmask_b32_e64 v9, v19, v11, s[6:7]
	v_cndmask_b32_e32 v11, v15, v13, vcc
	v_cndmask_b32_e64 v12, v12, v11, s[0:1]
	v_cndmask_b32_e64 v13, v16, v12, s[2:3]
	v_alignbit_b32 v15, v17, v13, v18
	v_cndmask_b32_e32 v10, v14, v10, vcc
	v_cndmask_b32_e64 v15, v15, v17, s[6:7]
	v_bfe_u32 v19, v9, 29, 1
	v_cndmask_b32_e64 v10, v11, v10, s[0:1]
	v_alignbit_b32 v16, v9, v15, 30
	v_sub_u32_e32 v20, 0, v19
	v_cndmask_b32_e64 v10, v12, v10, s[2:3]
	v_xor_b32_e32 v16, v16, v20
	v_alignbit_b32 v11, v13, v10, v18
	v_cndmask_b32_e64 v11, v11, v13, s[6:7]
	v_ffbh_u32_e32 v13, v16
	v_alignbit_b32 v12, v15, v11, 30
	v_min_u32_e32 v13, 32, v13
	v_alignbit_b32 v10, v11, v10, 30
	v_xor_b32_e32 v12, v12, v20
	v_sub_u32_e32 v14, 31, v13
	v_xor_b32_e32 v10, v10, v20
	v_alignbit_b32 v15, v16, v12, v14
	v_alignbit_b32 v10, v12, v10, v14
	;; [unrolled: 1-line block ×3, first 2 shown]
	v_ffbh_u32_e32 v12, v11
	v_min_u32_e32 v12, 32, v12
	v_lshrrev_b32_e32 v17, 29, v9
	v_not_b32_e32 v14, v12
	v_alignbit_b32 v10, v11, v10, v14
	v_lshlrev_b32_e32 v11, 31, v17
	v_or_b32_e32 v14, 0x33000000, v11
	v_add_lshl_u32 v12, v12, v13, 23
	v_lshrrev_b32_e32 v10, 9, v10
	v_sub_u32_e32 v12, v14, v12
	v_or_b32_e32 v11, 0.5, v11
	v_lshlrev_b32_e32 v13, 23, v13
	v_or_b32_e32 v10, v12, v10
	v_lshrrev_b32_e32 v12, 9, v15
	v_sub_u32_e32 v11, v11, v13
	v_or_b32_e32 v11, v12, v11
	s_mov_b32 s0, 0x3fc90fda
	v_mul_f32_e32 v12, 0x3fc90fda, v11
	v_fma_f32 v13, v11, s0, -v12
	v_fmac_f32_e32 v13, 0x33a22168, v11
	v_fmac_f32_e32 v13, 0x3fc90fda, v10
	v_lshrrev_b32_e32 v9, 30, v9
	v_add_f32_e32 v10, v12, v13
	v_add_u32_e32 v11, v19, v9
	s_andn2_saveexec_b64 s[0:1], s[16:17]
	s_cbranch_execnz .LBB12_18
	s_branch .LBB12_19
.LBB12_17:
	s_andn2_saveexec_b64 s[0:1], s[16:17]
	s_cbranch_execz .LBB12_19
.LBB12_18:
	s_mov_b32 s2, 0x3f22f983
	v_mul_f32_e64 v9, |v1|, s2
	v_rndne_f32_e32 v9, v9
	s_mov_b32 s2, 0xbfc90fda
	v_cvt_i32_f32_e32 v11, v9
	v_fma_f32 v10, v9, s2, |v1|
	v_fmac_f32_e32 v10, 0xb3a22168, v9
	v_fmac_f32_e32 v10, 0xa7c234c4, v9
.LBB12_19:
	s_or_b64 exec, exec, s[0:1]
	v_mul_lo_u32 v9, v4, s9
	v_mul_lo_u32 v14, v4, s12
	s_load_dwordx4 s[0:3], s[4:5], 0x0
	v_mad_u64_u32 v[12:13], s[4:5], v3, s13, v[0:1]
	v_sub_u32_e32 v5, v5, v9
	v_mul_lo_u32 v9, v5, s11
	s_waitcnt lgkmcnt(0)
	v_mov_b32_e32 v15, s1
	s_ashr_i32 s1, s21, 31
	v_mov_b32_e32 v18, 0x3c0881c4
	v_add3_u32 v12, v12, v14, v9
	v_ashrrev_i32_e32 v13, 31, v12
	v_lshlrev_b64 v[12:13], 1, v[12:13]
	v_mov_b32_e32 v19, 0xbe2aaa9d
	v_add_co_u32_e32 v12, vcc, s0, v12
	s_mov_b32 s0, s21
	v_addc_co_u32_e32 v13, vcc, v15, v13, vcc
	s_lshl_b64 s[0:1], s[0:1], 1
	v_mov_b32_e32 v9, s1
	v_add_co_u32_e32 v14, vcc, s0, v12
	v_addc_co_u32_e32 v15, vcc, v13, v9, vcc
	global_load_ushort v16, v[12:13], off
	global_load_ushort v17, v[14:15], off
	v_mul_f32_e32 v14, v7, v7
	v_mov_b32_e32 v15, 0x3c0881c4
	v_mad_u64_u32 v[12:13], s[4:5], v3, s20, v[0:1]
	v_mul_f32_e32 v0, v10, v10
	v_fmac_f32_e32 v18, 0xb94c1982, v14
	v_fmac_f32_e32 v15, 0xb94c1982, v0
	v_fma_f32 v3, v14, v18, v19
	v_mov_b32_e32 v13, 0xbab64f3b
	v_lshlrev_b32_e32 v18, 30, v11
	v_mov_b32_e32 v20, 0xbab64f3b
	v_fmac_f32_e32 v19, v0, v15
	v_fmac_f32_e32 v13, 0x37d75334, v14
	v_mov_b32_e32 v15, 0x3d2aabf7
	v_xor_b32_e32 v6, v6, v1
	v_and_b32_e32 v18, 0x80000000, v18
	v_fmac_f32_e32 v20, 0x37d75334, v0
	v_fma_f32 v13, v14, v13, v15
	v_xor_b32_e32 v6, v6, v18
	v_mov_b32_e32 v18, 0xbf000004
	v_mul_f32_e32 v3, v14, v3
	v_fmac_f32_e32 v15, v0, v20
	v_fma_f32 v13, v14, v13, v18
	v_fmac_f32_e32 v7, v7, v3
	v_and_b32_e32 v3, 1, v8
	v_fmac_f32_e32 v18, v0, v15
	v_fma_f32 v13, v14, v13, 1.0
	v_and_b32_e32 v11, 1, v11
	v_mul_f32_e32 v15, v0, v19
	v_cmp_eq_u32_e32 vcc, 0, v3
	v_mul_lo_u32 v4, v4, s15
	v_fmac_f32_e32 v10, v10, v15
	v_fma_f32 v0, v0, v18, 1.0
	v_cndmask_b32_e64 v3, -v7, v13, vcc
	v_mul_lo_u32 v5, v5, s14
	v_cmp_eq_u32_e32 vcc, 0, v11
	v_lshlrev_b32_e32 v8, 30, v8
	s_movk_i32 s1, 0x1f8
	v_cndmask_b32_e32 v0, v0, v10, vcc
	v_mov_b32_e32 v14, 0x7fc00000
	v_and_b32_e32 v8, 0x80000000, v8
	v_xor_b32_e32 v0, v6, v0
	v_cmp_class_f32_e64 vcc, v1, s1
	v_xor_b32_e32 v3, v8, v3
	v_cndmask_b32_e32 v0, v14, v0, vcc
	v_cndmask_b32_e32 v1, v14, v3, vcc
	v_mul_f32_e32 v8, v2, v0
	v_add3_u32 v0, v12, v4, v5
	v_mul_f32_e32 v6, v2, v1
	v_ashrrev_i32_e32 v1, 31, v0
	v_lshlrev_b64 v[0:1], 1, v[0:1]
	v_mov_b32_e32 v7, s3
	v_add_co_u32_e32 v0, vcc, s2, v0
	v_addc_co_u32_e32 v1, vcc, v7, v1, vcc
	v_add_co_u32_e32 v2, vcc, s0, v0
	v_addc_co_u32_e32 v3, vcc, v1, v9, vcc
	s_waitcnt vmcnt(1)
	v_cvt_f32_f16_e32 v4, v16
	s_waitcnt vmcnt(0)
	v_cvt_f32_f16_e32 v5, v17
	v_mul_f32_e32 v4, v8, v4
	v_mul_f32_e32 v5, v8, v5
	v_fma_mixlo_f16 v5, v6, v16, -v5 op_sel_hi:[0,1,0]
	v_fma_mixlo_f16 v4, v6, v17, v4 op_sel_hi:[0,1,0]
	global_store_short v[0:1], v5, off
	global_store_short v[2:3], v4, off
.LBB12_20:
	s_endpgm
	.section	.rodata,"a",@progbits
	.p2align	6, 0x0
	.amdhsa_kernel _ZL11rope_visionILb1ELb0E6__halfEvPKT1_PS1_iiiiiiiiiiPKifff14rope_corr_dimsfPKf14mrope_sections
		.amdhsa_group_segment_fixed_size 0
		.amdhsa_private_segment_fixed_size 0
		.amdhsa_kernarg_size 368
		.amdhsa_user_sgpr_count 6
		.amdhsa_user_sgpr_private_segment_buffer 1
		.amdhsa_user_sgpr_dispatch_ptr 0
		.amdhsa_user_sgpr_queue_ptr 0
		.amdhsa_user_sgpr_kernarg_segment_ptr 1
		.amdhsa_user_sgpr_dispatch_id 0
		.amdhsa_user_sgpr_flat_scratch_init 0
		.amdhsa_user_sgpr_private_segment_size 0
		.amdhsa_uses_dynamic_stack 0
		.amdhsa_system_sgpr_private_segment_wavefront_offset 0
		.amdhsa_system_sgpr_workgroup_id_x 1
		.amdhsa_system_sgpr_workgroup_id_y 1
		.amdhsa_system_sgpr_workgroup_id_z 0
		.amdhsa_system_sgpr_workgroup_info 0
		.amdhsa_system_vgpr_workitem_id 1
		.amdhsa_next_free_vgpr 21
		.amdhsa_next_free_sgpr 26
		.amdhsa_reserve_vcc 1
		.amdhsa_reserve_flat_scratch 0
		.amdhsa_float_round_mode_32 0
		.amdhsa_float_round_mode_16_64 0
		.amdhsa_float_denorm_mode_32 3
		.amdhsa_float_denorm_mode_16_64 3
		.amdhsa_dx10_clamp 1
		.amdhsa_ieee_mode 1
		.amdhsa_fp16_overflow 0
		.amdhsa_exception_fp_ieee_invalid_op 0
		.amdhsa_exception_fp_denorm_src 0
		.amdhsa_exception_fp_ieee_div_zero 0
		.amdhsa_exception_fp_ieee_overflow 0
		.amdhsa_exception_fp_ieee_underflow 0
		.amdhsa_exception_fp_ieee_inexact 0
		.amdhsa_exception_int_div_zero 0
	.end_amdhsa_kernel
	.section	.text._ZL11rope_visionILb1ELb0E6__halfEvPKT1_PS1_iiiiiiiiiiPKifff14rope_corr_dimsfPKf14mrope_sections,"axG",@progbits,_ZL11rope_visionILb1ELb0E6__halfEvPKT1_PS1_iiiiiiiiiiPKifff14rope_corr_dimsfPKf14mrope_sections,comdat
.Lfunc_end12:
	.size	_ZL11rope_visionILb1ELb0E6__halfEvPKT1_PS1_iiiiiiiiiiPKifff14rope_corr_dimsfPKf14mrope_sections, .Lfunc_end12-_ZL11rope_visionILb1ELb0E6__halfEvPKT1_PS1_iiiiiiiiiiPKifff14rope_corr_dimsfPKf14mrope_sections
                                        ; -- End function
	.set _ZL11rope_visionILb1ELb0E6__halfEvPKT1_PS1_iiiiiiiiiiPKifff14rope_corr_dimsfPKf14mrope_sections.num_vgpr, 21
	.set _ZL11rope_visionILb1ELb0E6__halfEvPKT1_PS1_iiiiiiiiiiPKifff14rope_corr_dimsfPKf14mrope_sections.num_agpr, 0
	.set _ZL11rope_visionILb1ELb0E6__halfEvPKT1_PS1_iiiiiiiiiiPKifff14rope_corr_dimsfPKf14mrope_sections.numbered_sgpr, 26
	.set _ZL11rope_visionILb1ELb0E6__halfEvPKT1_PS1_iiiiiiiiiiPKifff14rope_corr_dimsfPKf14mrope_sections.num_named_barrier, 0
	.set _ZL11rope_visionILb1ELb0E6__halfEvPKT1_PS1_iiiiiiiiiiPKifff14rope_corr_dimsfPKf14mrope_sections.private_seg_size, 0
	.set _ZL11rope_visionILb1ELb0E6__halfEvPKT1_PS1_iiiiiiiiiiPKifff14rope_corr_dimsfPKf14mrope_sections.uses_vcc, 1
	.set _ZL11rope_visionILb1ELb0E6__halfEvPKT1_PS1_iiiiiiiiiiPKifff14rope_corr_dimsfPKf14mrope_sections.uses_flat_scratch, 0
	.set _ZL11rope_visionILb1ELb0E6__halfEvPKT1_PS1_iiiiiiiiiiPKifff14rope_corr_dimsfPKf14mrope_sections.has_dyn_sized_stack, 0
	.set _ZL11rope_visionILb1ELb0E6__halfEvPKT1_PS1_iiiiiiiiiiPKifff14rope_corr_dimsfPKf14mrope_sections.has_recursion, 0
	.set _ZL11rope_visionILb1ELb0E6__halfEvPKT1_PS1_iiiiiiiiiiPKifff14rope_corr_dimsfPKf14mrope_sections.has_indirect_call, 0
	.section	.AMDGPU.csdata,"",@progbits
; Kernel info:
; codeLenInByte = 3736
; TotalNumSgprs: 30
; NumVgprs: 21
; ScratchSize: 0
; MemoryBound: 0
; FloatMode: 240
; IeeeMode: 1
; LDSByteSize: 0 bytes/workgroup (compile time only)
; SGPRBlocks: 3
; VGPRBlocks: 5
; NumSGPRsForWavesPerEU: 30
; NumVGPRsForWavesPerEU: 21
; Occupancy: 10
; WaveLimiterHint : 0
; COMPUTE_PGM_RSRC2:SCRATCH_EN: 0
; COMPUTE_PGM_RSRC2:USER_SGPR: 6
; COMPUTE_PGM_RSRC2:TRAP_HANDLER: 0
; COMPUTE_PGM_RSRC2:TGID_X_EN: 1
; COMPUTE_PGM_RSRC2:TGID_Y_EN: 1
; COMPUTE_PGM_RSRC2:TGID_Z_EN: 0
; COMPUTE_PGM_RSRC2:TIDIG_COMP_CNT: 1
	.section	.text._ZL11rope_visionILb1ELb1E6__halfEvPKT1_PS1_iiiiiiiiiiPKifff14rope_corr_dimsfPKf14mrope_sections,"axG",@progbits,_ZL11rope_visionILb1ELb1E6__halfEvPKT1_PS1_iiiiiiiiiiPKifff14rope_corr_dimsfPKf14mrope_sections,comdat
	.globl	_ZL11rope_visionILb1ELb1E6__halfEvPKT1_PS1_iiiiiiiiiiPKifff14rope_corr_dimsfPKf14mrope_sections ; -- Begin function _ZL11rope_visionILb1ELb1E6__halfEvPKT1_PS1_iiiiiiiiiiPKifff14rope_corr_dimsfPKf14mrope_sections
	.p2align	8
	.type	_ZL11rope_visionILb1ELb1E6__halfEvPKT1_PS1_iiiiiiiiiiPKifff14rope_corr_dimsfPKf14mrope_sections,@function
_ZL11rope_visionILb1ELb1E6__halfEvPKT1_PS1_iiiiiiiiiiPKifff14rope_corr_dimsfPKf14mrope_sections: ; @_ZL11rope_visionILb1ELb1E6__halfEvPKT1_PS1_iiiiiiiiiiPKifff14rope_corr_dimsfPKf14mrope_sections
; %bb.0:
	s_load_dword s0, s[4:5], 0x7c
	s_load_dwordx8 s[8:15], s[4:5], 0x10
	s_add_u32 s2, s4, 0x70
	s_addc_u32 s3, s5, 0
	s_waitcnt lgkmcnt(0)
	s_lshr_b32 s0, s0, 16
	s_mul_i32 s7, s7, s0
	v_add_lshl_u32 v1, s7, v1, 1
	v_cmp_gt_i32_e32 vcc, s8, v1
	s_and_saveexec_b64 s[0:1], vcc
	s_cbranch_execz .LBB13_20
; %bb.1:
	s_mul_i32 s7, s10, s9
	s_abs_i32 s8, s7
	v_cvt_f32_u32_e32 v2, s8
	s_load_dwordx2 s[0:1], s[4:5], 0x60
	s_load_dword s16, s[2:3], 0xc
	s_sub_i32 s3, 0, s8
	v_cvt_f32_u32_e32 v3, s9
	v_rcp_iflag_f32_e32 v2, v2
	s_sub_i32 s2, 0, s9
	s_waitcnt lgkmcnt(0)
	s_add_i32 s1, s1, s0
	v_rcp_iflag_f32_e32 v3, v3
	v_mul_f32_e32 v2, 0x4f7ffffe, v2
	v_cvt_u32_f32_e32 v2, v2
	s_mov_b64 s[24:25], -1
	v_mul_f32_e32 v3, 0x4f7ffffe, v3
	v_mul_lo_u32 v4, s3, v2
	s_and_b32 s3, s16, 0xffff
	s_mul_i32 s6, s6, s3
	v_add_u32_e32 v0, s6, v0
	v_mul_hi_u32 v4, v2, v4
	v_sub_u32_e32 v5, 0, v0
	v_max_i32_e32 v5, v0, v5
	s_load_dwordx2 s[20:21], s[4:5], 0x30
	s_load_dwordx4 s[16:19], s[4:5], 0x40
	v_add_u32_e32 v2, v2, v4
	v_mul_hi_u32 v2, v5, v2
	v_cvt_u32_f32_e32 v4, v3
	v_xor_b32_e32 v3, s7, v0
	v_ashrrev_i32_e32 v3, 31, v3
	v_mul_lo_u32 v6, v2, s8
	v_add_u32_e32 v8, 1, v2
	v_mul_lo_u32 v7, s2, v4
	s_abs_i32 s2, s1
	v_sub_u32_e32 v5, v5, v6
	v_cmp_le_u32_e32 vcc, s8, v5
	v_subrev_u32_e32 v6, s8, v5
	v_cndmask_b32_e32 v2, v2, v8, vcc
	v_cndmask_b32_e32 v5, v5, v6, vcc
	v_add_u32_e32 v6, 1, v2
	v_cmp_le_u32_e32 vcc, s8, v5
	v_cndmask_b32_e32 v2, v2, v6, vcc
	v_xor_b32_e32 v2, v2, v3
	v_sub_u32_e32 v3, v2, v3
	v_mul_lo_u32 v2, s7, v3
	v_mul_hi_u32 v6, v4, v7
	v_cvt_f32_u32_e32 v7, s2
	s_sub_i32 s3, 0, s2
	v_sub_u32_e32 v5, v0, v2
	v_add_u32_e32 v0, v4, v6
	v_rcp_iflag_f32_e32 v2, v7
	v_mul_hi_u32 v0, v5, v0
	s_load_dwordx2 s[6:7], s[4:5], 0x50
	v_mul_f32_e32 v2, 0x4f7ffffe, v2
	v_cvt_u32_f32_e32 v2, v2
	v_mul_lo_u32 v4, v0, s9
	v_add_u32_e32 v7, 1, v0
	v_mul_lo_u32 v6, s3, v2
	v_sub_u32_e32 v4, v5, v4
	v_cmp_le_u32_e32 vcc, s9, v4
	v_cndmask_b32_e32 v7, v0, v7, vcc
	v_mul_hi_u32 v6, v2, v6
	v_ashrrev_i32_e32 v0, 1, v1
	v_sub_u32_e32 v8, 0, v0
	v_max_i32_e32 v8, v0, v8
	v_add_u32_e32 v2, v2, v6
	v_mul_hi_u32 v2, v8, v2
	v_subrev_u32_e32 v6, s9, v4
	v_cndmask_b32_e32 v4, v4, v6, vcc
	v_add_u32_e32 v6, 1, v7
	v_mul_lo_u32 v2, v2, s2
	v_cmp_le_u32_e32 vcc, s9, v4
	v_cndmask_b32_e32 v4, v7, v6, vcc
	v_ashrrev_i32_e32 v1, 31, v1
	v_sub_u32_e32 v2, v8, v2
	v_subrev_u32_e32 v6, s2, v2
	v_cmp_le_u32_e32 vcc, s2, v2
	v_cndmask_b32_e32 v2, v2, v6, vcc
	v_subrev_u32_e32 v6, s2, v2
	v_cmp_le_u32_e32 vcc, s2, v2
	v_cndmask_b32_e32 v2, v2, v6, vcc
	v_xor_b32_e32 v2, v2, v1
	v_sub_u32_e32 v7, v2, v1
	v_cmp_le_i32_e32 vcc, s0, v7
	v_mov_b32_e32 v1, v4
	s_and_saveexec_b64 s[2:3], vcc
	s_cbranch_execz .LBB13_6
; %bb.2:
	s_cmp_gt_i32 s1, -1
	s_cbranch_scc0 .LBB13_4
; %bb.3:
	v_subrev_u32_e32 v7, s0, v7
	v_add_u32_e32 v1, s10, v4
	s_mov_b64 s[0:1], -1
	s_branch .LBB13_5
.LBB13_4:
	s_mov_b64 s[0:1], 0
                                        ; implicit-def: $vgpr7
                                        ; implicit-def: $vgpr1
.LBB13_5:
	s_orn2_b64 s[24:25], s[0:1], exec
.LBB13_6:
	s_or_b64 exec, exec, s[2:3]
	v_mov_b32_e32 v6, 0
	s_and_saveexec_b64 s[22:23], s[24:25]
	s_cbranch_execz .LBB13_8
; %bb.7:
	s_load_dwordx2 s[0:1], s[4:5], 0x38
	v_mov_b32_e32 v2, 0
	v_lshlrev_b64 v[1:2], 2, v[1:2]
	v_mov_b32_e32 v9, 0x3e91f4c4
	v_mov_b32_e32 v10, 0x3ecccdef
	s_waitcnt lgkmcnt(0)
	v_mov_b32_e32 v6, s1
	v_add_co_u32_e32 v1, vcc, s0, v1
	v_addc_co_u32_e32 v2, vcc, v6, v2, vcc
	global_load_dword v6, v[1:2], off
	v_cvt_f32_i32_e32 v1, v7
	v_cmp_neq_f32_e64 vcc, s7, 1.0
	v_mov_b32_e32 v7, s7
	s_mov_b32 s0, 0x3f2aaaab
	v_cndmask_b32_e32 v2, 1.0, v1, vcc
	v_cmp_neq_f32_e32 vcc, 0, v2
	v_cndmask_b32_e32 v1, 1.0, v7, vcc
	v_frexp_mant_f32_e64 v11, |v1|
	v_cmp_gt_f32_e32 vcc, s0, v11
	v_cvt_f64_f32_e64 v[7:8], |v1|
	v_cndmask_b32_e64 v12, 1.0, 2.0, vcc
	v_mul_f32_e32 v11, v11, v12
	v_add_f32_e32 v13, 1.0, v11
	v_rcp_f32_e32 v14, v13
	v_frexp_exp_i32_f64_e32 v7, v[7:8]
	v_add_f32_e32 v12, -1.0, v11
	v_add_f32_e32 v15, -1.0, v13
	v_sub_f32_e32 v8, v11, v15
	v_mul_f32_e32 v11, v12, v14
	v_mul_f32_e32 v15, v13, v11
	v_fma_f32 v13, v11, v13, -v15
	v_fmac_f32_e32 v13, v11, v8
	v_add_f32_e32 v8, v15, v13
	v_subbrev_co_u32_e32 v7, vcc, 0, v7, vcc
	v_sub_f32_e32 v16, v12, v8
	v_sub_f32_e32 v15, v8, v15
	v_cvt_f32_i32_e32 v7, v7
	v_sub_f32_e32 v12, v12, v16
	v_sub_f32_e32 v13, v15, v13
	;; [unrolled: 1-line block ×3, first 2 shown]
	v_add_f32_e32 v8, v13, v8
	v_add_f32_e32 v8, v16, v8
	s_mov_b32 s1, 0x3f317218
	v_mul_f32_e32 v12, 0x3f317218, v7
	v_mul_f32_e32 v8, v14, v8
	v_fma_f32 v13, v7, s1, -v12
	v_add_f32_e32 v14, v11, v8
	v_fmac_f32_e32 v13, 0xb102e308, v7
	v_sub_f32_e32 v7, v14, v11
	v_mul_f32_e32 v11, v14, v14
	v_sub_f32_e32 v7, v8, v7
	v_fma_f32 v8, v14, v14, -v11
	v_add_f32_e32 v15, v7, v7
	v_fmac_f32_e32 v8, v14, v15
	v_add_f32_e32 v15, v11, v8
	v_fmac_f32_e32 v9, 0x3e76c4e1, v15
	v_mul_f32_e32 v17, v14, v15
	v_sub_f32_e32 v11, v15, v11
	v_fmac_f32_e32 v10, v15, v9
	v_fma_f32 v9, v15, v14, -v17
	v_ldexp_f32 v16, v7, 1
	v_sub_f32_e32 v8, v8, v11
	v_fmac_f32_e32 v9, v15, v7
	v_mul_f32_e32 v7, v15, v10
	v_fmac_f32_e32 v9, v8, v14
	v_fma_f32 v11, v15, v10, -v7
	v_add_f32_e32 v15, v17, v9
	v_fmac_f32_e32 v11, v8, v10
	v_sub_f32_e32 v8, v15, v17
	v_add_f32_e32 v10, v7, v11
	v_sub_f32_e32 v8, v9, v8
	v_add_f32_e32 v9, 0x3f2aaaaa, v10
	v_sub_f32_e32 v7, v10, v7
	v_sub_f32_e32 v7, v11, v7
	v_add_f32_e32 v11, 0xbf2aaaaa, v9
	v_add_f32_e32 v7, 0x31739010, v7
	v_sub_f32_e32 v10, v10, v11
	v_add_f32_e32 v7, v7, v10
	v_add_f32_e32 v10, v9, v7
	v_sub_f32_e32 v9, v9, v10
	v_mul_f32_e32 v11, v15, v10
	v_add_f32_e32 v7, v7, v9
	v_fma_f32 v9, v15, v10, -v11
	v_fmac_f32_e32 v9, v15, v7
	v_fmac_f32_e32 v9, v8, v10
	v_add_f32_e32 v8, v12, v13
	v_sub_f32_e32 v10, v8, v12
	v_add_f32_e32 v12, v11, v9
	v_ldexp_f32 v7, v14, 1
	v_sub_f32_e32 v11, v12, v11
	v_sub_f32_e32 v9, v9, v11
	v_add_f32_e32 v11, v7, v12
	v_sub_f32_e32 v7, v11, v7
	v_sub_f32_e32 v7, v12, v7
	v_add_f32_e32 v9, v16, v9
	v_add_f32_e32 v7, v9, v7
	v_add_f32_e32 v9, v11, v7
	v_sub_f32_e32 v11, v9, v11
	v_sub_f32_e32 v7, v7, v11
	v_add_f32_e32 v11, v8, v9
	v_sub_f32_e32 v12, v11, v8
	v_sub_f32_e32 v10, v13, v10
	;; [unrolled: 1-line block ×5, first 2 shown]
	v_add_f32_e32 v8, v9, v8
	v_add_f32_e32 v9, v10, v7
	v_sub_f32_e32 v12, v9, v10
	v_sub_f32_e32 v13, v9, v12
	v_add_f32_e32 v8, v9, v8
	v_sub_f32_e32 v10, v10, v13
	v_sub_f32_e32 v7, v7, v12
	v_add_f32_e32 v9, v11, v8
	v_add_f32_e32 v7, v7, v10
	v_sub_f32_e32 v10, v9, v11
	v_sub_f32_e32 v8, v8, v10
	v_add_f32_e32 v7, v7, v8
	v_add_f32_e32 v8, v9, v7
	v_sub_f32_e32 v9, v8, v9
	v_sub_f32_e32 v7, v7, v9
	v_mul_f32_e32 v9, v2, v8
	v_fma_f32 v8, v2, v8, -v9
	v_fmac_f32_e32 v8, v2, v7
	s_movk_i32 s2, 0x204
	v_add_f32_e32 v7, v9, v8
	v_cmp_class_f32_e64 vcc, v9, s2
	v_sub_f32_e32 v10, v7, v9
	v_cndmask_b32_e32 v7, v7, v9, vcc
	s_mov_b32 s1, 0x42b17218
	v_mov_b32_e32 v9, 0x37000000
	v_cmp_eq_f32_e32 vcc, s1, v7
	v_cndmask_b32_e32 v9, 0, v9, vcc
	v_sub_f32_e32 v8, v8, v10
	v_sub_f32_e32 v10, v7, v9
	s_mov_b32 s3, 0x3fb8aa3b
	v_mul_f32_e32 v11, 0x3fb8aa3b, v10
	v_fma_f32 v12, v10, s3, -v11
	v_rndne_f32_e32 v13, v11
	v_fmac_f32_e32 v12, 0x32a5705f, v10
	v_sub_f32_e32 v11, v11, v13
	v_add_f32_e32 v11, v11, v12
	v_exp_f32_e32 v11, v11
	v_cvt_i32_f32_e32 v12, v13
	s_mov_b32 s0, 0x7f800000
	v_cmp_neq_f32_e64 vcc, |v7|, s0
	s_mov_b32 s0, 0xc2ce8ed0
	v_cndmask_b32_e32 v7, 0, v8, vcc
	v_ldexp_f32 v8, v11, v12
	v_cmp_ngt_f32_e32 vcc, s0, v10
	v_add_f32_e32 v7, v9, v7
	v_cndmask_b32_e32 v8, 0, v8, vcc
	v_mov_b32_e32 v9, 0x7f800000
	v_cmp_nlt_f32_e32 vcc, s1, v10
	v_cndmask_b32_e32 v8, v9, v8, vcc
	v_fma_f32 v7, v8, v7, v8
	v_cmp_class_f32_e64 vcc, v8, s2
	v_cndmask_b32_e32 v7, v7, v8, vcc
	v_trunc_f32_e32 v8, v2
	v_cmp_eq_f32_e32 vcc, v8, v2
	v_mul_f32_e32 v8, 0.5, v2
	v_trunc_f32_e32 v11, v8
	v_cmp_neq_f32_e64 s[0:1], v11, v8
	s_and_b64 s[0:1], vcc, s[0:1]
	v_cndmask_b32_e64 v8, 1.0, v1, s[0:1]
	s_brev_b32 s7, -2
	v_mov_b32_e32 v10, 0x7fc00000
	v_bfi_b32 v7, s7, v7, v8
	v_cndmask_b32_e32 v8, v10, v7, vcc
	v_cmp_gt_f32_e32 vcc, 0, v1
	v_cndmask_b32_e32 v7, v7, v8, vcc
	v_cmp_class_f32_e64 s[24:25], v1, s2
	v_cmp_eq_f32_e32 vcc, 0, v1
	v_cmp_gt_f32_e64 s[2:3], 0, v2
	s_xor_b64 s[2:3], s[2:3], vcc
	s_waitcnt vmcnt(0)
	v_cvt_f32_i32_e32 v6, v6
	v_cndmask_b32_e64 v2, v9, 0, s[2:3]
	v_cndmask_b32_e64 v8, 0, v1, s[0:1]
	v_bfi_b32 v2, s7, v2, v8
	s_or_b64 vcc, vcc, s[24:25]
	v_cndmask_b32_e32 v2, v7, v2, vcc
	v_cmp_o_f32_e32 vcc, v1, v1
	v_cndmask_b32_e32 v1, v10, v2, vcc
	v_mul_f32_e32 v6, v1, v6
.LBB13_8:
	s_or_b64 exec, exec, s[22:23]
	s_load_dwordx2 s[0:1], s[4:5], 0x58
	v_ashrrev_i32_e32 v1, 31, v0
	v_lshlrev_b64 v[1:2], 2, v[0:1]
	s_waitcnt lgkmcnt(0)
	v_mov_b32_e32 v7, s1
	v_add_co_u32_e32 v1, vcc, s0, v1
	v_addc_co_u32_e32 v2, vcc, v7, v2, vcc
	global_load_dword v1, v[1:2], off
	s_waitcnt vmcnt(0)
	v_div_scale_f32 v2, s[0:1], v1, v1, v6
	v_div_scale_f32 v7, vcc, v6, v1, v6
	v_cmp_eq_f32_e64 s[0:1], s17, 0
	v_rcp_f32_e32 v8, v2
	v_fma_f32 v9, -v2, v8, 1.0
	v_fmac_f32_e32 v8, v9, v8
	v_mul_f32_e32 v9, v7, v8
	v_fma_f32 v10, -v2, v9, v7
	v_fmac_f32_e32 v9, v10, v8
	v_fma_f32 v2, -v2, v9, v7
	v_div_fmas_f32 v7, v2, v8, v9
	s_and_b64 vcc, exec, s[0:1]
	v_div_fixup_f32 v6, v7, v1, v6
	v_mul_f32_e32 v1, s16, v6
	s_cbranch_vccnz .LBB13_10
; %bb.9:
	v_cvt_f32_i32_e32 v2, v0
	v_div_scale_f32 v8, s[0:1], s16, s16, 1.0
	v_mov_b32_e32 v7, s19
	v_sub_f32_e32 v7, s6, v7
	v_subrev_f32_e32 v2, s19, v2
	v_max_f32_e32 v7, 0x3a83126f, v7
	v_div_scale_f32 v9, s[0:1], v7, v7, v2
	v_div_scale_f32 v10, s[0:1], 1.0, s16, 1.0
	v_div_scale_f32 v11, vcc, v2, v7, v2
	s_mov_b32 s2, 0x3f317217
	s_mov_b32 s3, 0x7f800000
	v_rcp_f32_e32 v12, v8
	v_fma_f32 v13, -v8, v12, 1.0
	v_fmac_f32_e32 v12, v13, v12
	v_rcp_f32_e32 v14, v9
	v_mul_f32_e32 v13, v10, v12
	v_fma_f32 v15, -v8, v13, v10
	v_fmac_f32_e32 v13, v15, v12
	v_fma_f32 v15, -v9, v14, 1.0
	v_fmac_f32_e32 v14, v15, v14
	v_fma_f32 v8, -v8, v13, v10
	v_mul_f32_e32 v10, v11, v14
	v_fma_f32 v15, -v9, v10, v11
	v_fmac_f32_e32 v10, v15, v14
	v_fma_f32 v9, -v9, v10, v11
	v_div_fmas_f32 v9, v9, v14, v10
	s_mov_b64 vcc, s[0:1]
	v_div_fmas_f32 v8, v8, v12, v13
	s_mov_b32 s0, 0x800000
	v_mov_b32_e32 v10, 0x41b17218
	v_div_fixup_f32 v2, v9, v7, v2 clamp
	v_sub_f32_e32 v2, 1.0, v2
	v_div_fixup_f32 v7, v8, s16, 1.0
	v_cmp_gt_f32_e32 vcc, s0, v7
	s_and_b64 s[0:1], vcc, exec
	s_cselect_b32 s0, 32, 0
	v_ldexp_f32 v7, v7, s0
	v_log_f32_e32 v7, v7
	v_mul_f32_e32 v8, s17, v2
	v_fma_f32 v2, -s17, v2, 1.0
	v_mul_f32_e32 v1, v2, v1
	v_mul_f32_e32 v2, 0x3f317217, v7
	v_fma_f32 v2, v7, s2, -v2
	v_fmac_f32_e32 v2, 0x3377d1cf, v7
	v_cndmask_b32_e32 v9, 0, v10, vcc
	v_fmac_f32_e32 v2, 0x3f317217, v7
	v_cmp_lt_f32_e64 vcc, |v7|, s3
	v_cndmask_b32_e32 v2, v7, v2, vcc
	v_sub_f32_e32 v2, v2, v9
	s_mov_b32 s0, 0x3dcccccd
	v_fma_f32 v2, v2, s0, 1.0
	v_fmac_f32_e32 v1, v8, v6
	v_mul_f32_e32 v2, s18, v2
	s_branch .LBB13_11
.LBB13_10:
	v_mov_b32_e32 v2, s18
.LBB13_11:
	v_and_b32_e32 v6, 0x7fffffff, v1
	s_brev_b32 s0, 18
	v_cmp_nlt_f32_e64 s[16:17], |v1|, s0
	v_lshrrev_b32_e32 v9, 23, v6
                                        ; implicit-def: $vgpr8
                                        ; implicit-def: $vgpr7
	s_and_saveexec_b64 s[0:1], s[16:17]
	s_xor_b64 s[18:19], exec, s[0:1]
	s_cbranch_execz .LBB13_13
; %bb.12:
	v_and_b32_e32 v7, 0x7fffff, v6
	v_or_b32_e32 v18, 0x800000, v7
	s_mov_b32 s0, 0xfe5163ab
	v_mad_u64_u32 v[7:8], s[0:1], v18, s0, 0
	v_mov_b32_e32 v11, 0
	s_mov_b32 s0, 0x3c439041
	v_mov_b32_e32 v10, v8
	v_mad_u64_u32 v[12:13], s[0:1], v18, s0, v[10:11]
	s_mov_b32 s0, 0xdb629599
	v_add_u32_e32 v8, 0xffffff88, v9
	v_mov_b32_e32 v10, v13
	v_mad_u64_u32 v[13:14], s[0:1], v18, s0, v[10:11]
	s_mov_b32 s0, 0xf534ddc0
	v_not_b32_e32 v17, 63
	v_mov_b32_e32 v10, v14
	v_mad_u64_u32 v[14:15], s[0:1], v18, s0, v[10:11]
	s_mov_b32 s0, 0xfc2757d1
	v_cmp_lt_u32_e32 vcc, 63, v8
	v_mov_b32_e32 v10, v15
	v_mad_u64_u32 v[15:16], s[0:1], v18, s0, v[10:11]
	v_cndmask_b32_e32 v10, 0, v17, vcc
	v_add_u32_e32 v8, v10, v8
	v_mov_b32_e32 v10, v16
	s_mov_b32 s0, 0x4e441529
	v_mad_u64_u32 v[16:17], s[0:1], v18, s0, v[10:11]
	v_not_b32_e32 v19, 31
	v_cmp_lt_u32_e64 s[0:1], 31, v8
	v_cndmask_b32_e64 v10, 0, v19, s[0:1]
	v_add_u32_e32 v8, v10, v8
	v_mov_b32_e32 v10, v17
	s_mov_b32 s2, 0xa2f9836e
	v_mad_u64_u32 v[10:11], s[2:3], v18, s2, v[10:11]
	v_cmp_lt_u32_e64 s[2:3], 31, v8
	v_cndmask_b32_e64 v17, 0, v19, s[2:3]
	v_add_u32_e32 v8, v17, v8
	v_cndmask_b32_e32 v17, v16, v14, vcc
	v_cndmask_b32_e32 v10, v10, v15, vcc
	v_cndmask_b32_e32 v11, v11, v16, vcc
	v_cndmask_b32_e64 v18, v10, v17, s[0:1]
	v_cndmask_b32_e64 v10, v11, v10, s[0:1]
	v_cndmask_b32_e32 v11, v15, v13, vcc
	v_cndmask_b32_e64 v15, v17, v11, s[0:1]
	v_cndmask_b32_e64 v10, v10, v18, s[2:3]
	;; [unrolled: 1-line block ×3, first 2 shown]
	v_sub_u32_e32 v17, 32, v8
	v_alignbit_b32 v18, v10, v16, v17
	v_cmp_eq_u32_e64 s[6:7], 0, v8
	v_cndmask_b32_e64 v8, v18, v10, s[6:7]
	v_cndmask_b32_e32 v10, v14, v12, vcc
	v_cndmask_b32_e64 v11, v11, v10, s[0:1]
	v_cndmask_b32_e64 v12, v15, v11, s[2:3]
	v_alignbit_b32 v14, v16, v12, v17
	v_cndmask_b32_e32 v7, v13, v7, vcc
	v_cndmask_b32_e64 v14, v14, v16, s[6:7]
	v_bfe_u32 v18, v8, 29, 1
	v_cndmask_b32_e64 v7, v10, v7, s[0:1]
	v_alignbit_b32 v15, v8, v14, 30
	v_sub_u32_e32 v19, 0, v18
	v_cndmask_b32_e64 v7, v11, v7, s[2:3]
	v_xor_b32_e32 v15, v15, v19
	v_alignbit_b32 v10, v12, v7, v17
	v_cndmask_b32_e64 v10, v10, v12, s[6:7]
	v_ffbh_u32_e32 v12, v15
	v_alignbit_b32 v11, v14, v10, 30
	v_min_u32_e32 v12, 32, v12
	v_alignbit_b32 v7, v10, v7, 30
	v_xor_b32_e32 v11, v11, v19
	v_sub_u32_e32 v13, 31, v12
	v_xor_b32_e32 v7, v7, v19
	v_alignbit_b32 v14, v15, v11, v13
	v_alignbit_b32 v7, v11, v7, v13
	;; [unrolled: 1-line block ×3, first 2 shown]
	v_ffbh_u32_e32 v11, v10
	v_min_u32_e32 v11, 32, v11
	v_lshrrev_b32_e32 v16, 29, v8
	v_not_b32_e32 v13, v11
	v_alignbit_b32 v7, v10, v7, v13
	v_lshlrev_b32_e32 v10, 31, v16
	v_or_b32_e32 v13, 0x33000000, v10
	v_add_lshl_u32 v11, v11, v12, 23
	v_lshrrev_b32_e32 v7, 9, v7
	v_sub_u32_e32 v11, v13, v11
	v_or_b32_e32 v10, 0.5, v10
	v_lshlrev_b32_e32 v12, 23, v12
	v_or_b32_e32 v7, v11, v7
	v_lshrrev_b32_e32 v11, 9, v14
	v_sub_u32_e32 v10, v10, v12
	v_or_b32_e32 v10, v11, v10
	s_mov_b32 s0, 0x3fc90fda
	v_mul_f32_e32 v11, 0x3fc90fda, v10
	v_fma_f32 v12, v10, s0, -v11
	v_fmac_f32_e32 v12, 0x33a22168, v10
	v_fmac_f32_e32 v12, 0x3fc90fda, v7
	v_lshrrev_b32_e32 v8, 30, v8
	v_add_f32_e32 v7, v11, v12
	v_add_u32_e32 v8, v18, v8
	s_andn2_saveexec_b64 s[0:1], s[18:19]
	s_cbranch_execz .LBB13_15
	s_branch .LBB13_14
.LBB13_13:
	s_andn2_saveexec_b64 s[0:1], s[18:19]
	s_cbranch_execz .LBB13_15
.LBB13_14:
	s_mov_b32 s2, 0x3f22f983
	v_mul_f32_e64 v7, |v1|, s2
	v_rndne_f32_e32 v10, v7
	s_mov_b32 s2, 0xbfc90fda
	v_cvt_i32_f32_e32 v8, v10
	v_fma_f32 v7, v10, s2, |v1|
	v_fmac_f32_e32 v7, 0xb3a22168, v10
	v_fmac_f32_e32 v7, 0xa7c234c4, v10
.LBB13_15:
	s_or_b64 exec, exec, s[0:1]
                                        ; implicit-def: $vgpr11
                                        ; implicit-def: $vgpr10
	s_and_saveexec_b64 s[0:1], s[16:17]
	s_xor_b64 s[16:17], exec, s[0:1]
	s_cbranch_execz .LBB13_17
; %bb.16:
	v_and_b32_e32 v10, 0x7fffff, v6
	v_or_b32_e32 v19, 0x800000, v10
	s_mov_b32 s0, 0xfe5163ab
	v_mad_u64_u32 v[10:11], s[0:1], v19, s0, 0
	v_mov_b32_e32 v12, 0
	s_mov_b32 s0, 0x3c439041
	v_mad_u64_u32 v[13:14], s[0:1], v19, s0, v[11:12]
	s_mov_b32 s0, 0xdb629599
	v_add_u32_e32 v9, 0xffffff88, v9
	v_mov_b32_e32 v11, v14
	v_mad_u64_u32 v[14:15], s[0:1], v19, s0, v[11:12]
	s_mov_b32 s0, 0xf534ddc0
	v_not_b32_e32 v18, 63
	v_mov_b32_e32 v11, v15
	v_mad_u64_u32 v[15:16], s[0:1], v19, s0, v[11:12]
	s_mov_b32 s0, 0xfc2757d1
	v_cmp_lt_u32_e32 vcc, 63, v9
	v_mov_b32_e32 v11, v16
	v_mad_u64_u32 v[16:17], s[0:1], v19, s0, v[11:12]
	v_cndmask_b32_e32 v11, 0, v18, vcc
	v_add_u32_e32 v9, v11, v9
	v_mov_b32_e32 v11, v17
	s_mov_b32 s0, 0x4e441529
	v_mad_u64_u32 v[17:18], s[0:1], v19, s0, v[11:12]
	v_not_b32_e32 v20, 31
	v_cmp_lt_u32_e64 s[0:1], 31, v9
	v_cndmask_b32_e64 v11, 0, v20, s[0:1]
	v_add_u32_e32 v9, v11, v9
	v_mov_b32_e32 v11, v18
	s_mov_b32 s2, 0xa2f9836e
	v_mad_u64_u32 v[11:12], s[2:3], v19, s2, v[11:12]
	v_cmp_lt_u32_e64 s[2:3], 31, v9
	v_cndmask_b32_e64 v18, 0, v20, s[2:3]
	v_add_u32_e32 v9, v18, v9
	v_cndmask_b32_e32 v18, v17, v15, vcc
	v_cndmask_b32_e32 v11, v11, v16, vcc
	;; [unrolled: 1-line block ×3, first 2 shown]
	v_cndmask_b32_e64 v19, v11, v18, s[0:1]
	v_cndmask_b32_e64 v11, v12, v11, s[0:1]
	v_cndmask_b32_e32 v12, v16, v14, vcc
	v_cndmask_b32_e64 v16, v18, v12, s[0:1]
	v_cndmask_b32_e64 v11, v11, v19, s[2:3]
	;; [unrolled: 1-line block ×3, first 2 shown]
	v_sub_u32_e32 v18, 32, v9
	v_alignbit_b32 v19, v11, v17, v18
	v_cmp_eq_u32_e64 s[6:7], 0, v9
	v_cndmask_b32_e64 v9, v19, v11, s[6:7]
	v_cndmask_b32_e32 v11, v15, v13, vcc
	v_cndmask_b32_e64 v12, v12, v11, s[0:1]
	v_cndmask_b32_e64 v13, v16, v12, s[2:3]
	v_alignbit_b32 v15, v17, v13, v18
	v_cndmask_b32_e32 v10, v14, v10, vcc
	v_cndmask_b32_e64 v15, v15, v17, s[6:7]
	v_bfe_u32 v19, v9, 29, 1
	v_cndmask_b32_e64 v10, v11, v10, s[0:1]
	v_alignbit_b32 v16, v9, v15, 30
	v_sub_u32_e32 v20, 0, v19
	v_cndmask_b32_e64 v10, v12, v10, s[2:3]
	v_xor_b32_e32 v16, v16, v20
	v_alignbit_b32 v11, v13, v10, v18
	v_cndmask_b32_e64 v11, v11, v13, s[6:7]
	v_ffbh_u32_e32 v13, v16
	v_alignbit_b32 v12, v15, v11, 30
	v_min_u32_e32 v13, 32, v13
	v_alignbit_b32 v10, v11, v10, 30
	v_xor_b32_e32 v12, v12, v20
	v_sub_u32_e32 v14, 31, v13
	v_xor_b32_e32 v10, v10, v20
	v_alignbit_b32 v15, v16, v12, v14
	v_alignbit_b32 v10, v12, v10, v14
	;; [unrolled: 1-line block ×3, first 2 shown]
	v_ffbh_u32_e32 v12, v11
	v_min_u32_e32 v12, 32, v12
	v_lshrrev_b32_e32 v17, 29, v9
	v_not_b32_e32 v14, v12
	v_alignbit_b32 v10, v11, v10, v14
	v_lshlrev_b32_e32 v11, 31, v17
	v_or_b32_e32 v14, 0x33000000, v11
	v_add_lshl_u32 v12, v12, v13, 23
	v_lshrrev_b32_e32 v10, 9, v10
	v_sub_u32_e32 v12, v14, v12
	v_or_b32_e32 v11, 0.5, v11
	v_lshlrev_b32_e32 v13, 23, v13
	v_or_b32_e32 v10, v12, v10
	v_lshrrev_b32_e32 v12, 9, v15
	v_sub_u32_e32 v11, v11, v13
	v_or_b32_e32 v11, v12, v11
	s_mov_b32 s0, 0x3fc90fda
	v_mul_f32_e32 v12, 0x3fc90fda, v11
	v_fma_f32 v13, v11, s0, -v12
	v_fmac_f32_e32 v13, 0x33a22168, v11
	v_fmac_f32_e32 v13, 0x3fc90fda, v10
	v_lshrrev_b32_e32 v9, 30, v9
	v_add_f32_e32 v10, v12, v13
	v_add_u32_e32 v11, v19, v9
	s_andn2_saveexec_b64 s[0:1], s[16:17]
	s_cbranch_execnz .LBB13_18
	s_branch .LBB13_19
.LBB13_17:
	s_andn2_saveexec_b64 s[0:1], s[16:17]
	s_cbranch_execz .LBB13_19
.LBB13_18:
	s_mov_b32 s2, 0x3f22f983
	v_mul_f32_e64 v9, |v1|, s2
	v_rndne_f32_e32 v9, v9
	s_mov_b32 s2, 0xbfc90fda
	v_cvt_i32_f32_e32 v11, v9
	v_fma_f32 v10, v9, s2, |v1|
	v_fmac_f32_e32 v10, 0xb3a22168, v9
	v_fmac_f32_e32 v10, 0xa7c234c4, v9
.LBB13_19:
	s_or_b64 exec, exec, s[0:1]
	v_mul_lo_u32 v9, v4, s9
	v_mul_lo_u32 v14, v4, s12
	s_load_dwordx4 s[0:3], s[4:5], 0x0
	v_mad_u64_u32 v[12:13], s[4:5], v3, s13, v[0:1]
	v_sub_u32_e32 v5, v5, v9
	v_mul_lo_u32 v9, v5, s11
	s_waitcnt lgkmcnt(0)
	v_mov_b32_e32 v15, s1
	s_ashr_i32 s1, s21, 31
	v_mov_b32_e32 v18, 0x3c0881c4
	v_add3_u32 v12, v12, v14, v9
	v_ashrrev_i32_e32 v13, 31, v12
	v_lshlrev_b64 v[12:13], 1, v[12:13]
	v_mov_b32_e32 v19, 0xbe2aaa9d
	v_add_co_u32_e32 v12, vcc, s0, v12
	s_mov_b32 s0, s21
	v_addc_co_u32_e32 v13, vcc, v15, v13, vcc
	s_lshl_b64 s[0:1], s[0:1], 1
	v_mov_b32_e32 v9, s1
	v_add_co_u32_e32 v14, vcc, s0, v12
	v_addc_co_u32_e32 v15, vcc, v13, v9, vcc
	global_load_ushort v16, v[12:13], off
	global_load_ushort v17, v[14:15], off
	v_mul_f32_e32 v14, v7, v7
	v_mov_b32_e32 v15, 0x3c0881c4
	v_mad_u64_u32 v[12:13], s[4:5], v3, s20, v[0:1]
	v_mul_f32_e32 v0, v10, v10
	v_fmac_f32_e32 v18, 0xb94c1982, v14
	v_fmac_f32_e32 v15, 0xb94c1982, v0
	v_fma_f32 v3, v14, v18, v19
	v_mov_b32_e32 v13, 0xbab64f3b
	v_lshlrev_b32_e32 v18, 30, v11
	v_mov_b32_e32 v20, 0xbab64f3b
	v_fmac_f32_e32 v19, v0, v15
	v_fmac_f32_e32 v13, 0x37d75334, v14
	v_mov_b32_e32 v15, 0x3d2aabf7
	v_xor_b32_e32 v6, v6, v1
	v_and_b32_e32 v18, 0x80000000, v18
	v_fmac_f32_e32 v20, 0x37d75334, v0
	v_fma_f32 v13, v14, v13, v15
	v_xor_b32_e32 v6, v6, v18
	v_mov_b32_e32 v18, 0xbf000004
	v_mul_f32_e32 v3, v14, v3
	v_fmac_f32_e32 v15, v0, v20
	v_fma_f32 v13, v14, v13, v18
	v_fmac_f32_e32 v7, v7, v3
	v_and_b32_e32 v3, 1, v8
	v_fmac_f32_e32 v18, v0, v15
	v_fma_f32 v13, v14, v13, 1.0
	v_and_b32_e32 v11, 1, v11
	v_mul_f32_e32 v15, v0, v19
	v_cmp_eq_u32_e32 vcc, 0, v3
	v_mul_lo_u32 v4, v4, s15
	v_fmac_f32_e32 v10, v10, v15
	v_fma_f32 v0, v0, v18, 1.0
	v_cndmask_b32_e64 v3, -v7, v13, vcc
	v_mul_lo_u32 v5, v5, s14
	v_cmp_eq_u32_e32 vcc, 0, v11
	v_lshlrev_b32_e32 v8, 30, v8
	s_movk_i32 s1, 0x1f8
	v_cndmask_b32_e32 v0, v0, v10, vcc
	v_mov_b32_e32 v14, 0x7fc00000
	v_and_b32_e32 v8, 0x80000000, v8
	v_xor_b32_e32 v0, v6, v0
	v_cmp_class_f32_e64 vcc, v1, s1
	v_xor_b32_e32 v3, v8, v3
	v_cndmask_b32_e32 v0, v14, v0, vcc
	v_cndmask_b32_e32 v1, v14, v3, vcc
	v_mul_f32_e32 v8, v2, v0
	v_add3_u32 v0, v12, v4, v5
	v_mul_f32_e32 v6, v2, v1
	v_ashrrev_i32_e32 v1, 31, v0
	v_lshlrev_b64 v[0:1], 1, v[0:1]
	v_mov_b32_e32 v7, s3
	v_add_co_u32_e32 v0, vcc, s2, v0
	v_addc_co_u32_e32 v1, vcc, v7, v1, vcc
	v_add_co_u32_e32 v2, vcc, s0, v0
	v_addc_co_u32_e32 v3, vcc, v1, v9, vcc
	s_waitcnt vmcnt(1)
	v_cvt_f32_f16_e32 v4, v16
	s_waitcnt vmcnt(0)
	v_cvt_f32_f16_e32 v5, v17
	v_mul_f32_e32 v4, v8, v4
	v_mul_f32_e32 v5, v8, v5
	v_fma_mixlo_f16 v5, v6, v16, -v5 op_sel_hi:[0,1,0]
	v_fma_mixlo_f16 v4, v6, v17, v4 op_sel_hi:[0,1,0]
	global_store_short v[0:1], v5, off
	global_store_short v[2:3], v4, off
.LBB13_20:
	s_endpgm
	.section	.rodata,"a",@progbits
	.p2align	6, 0x0
	.amdhsa_kernel _ZL11rope_visionILb1ELb1E6__halfEvPKT1_PS1_iiiiiiiiiiPKifff14rope_corr_dimsfPKf14mrope_sections
		.amdhsa_group_segment_fixed_size 0
		.amdhsa_private_segment_fixed_size 0
		.amdhsa_kernarg_size 368
		.amdhsa_user_sgpr_count 6
		.amdhsa_user_sgpr_private_segment_buffer 1
		.amdhsa_user_sgpr_dispatch_ptr 0
		.amdhsa_user_sgpr_queue_ptr 0
		.amdhsa_user_sgpr_kernarg_segment_ptr 1
		.amdhsa_user_sgpr_dispatch_id 0
		.amdhsa_user_sgpr_flat_scratch_init 0
		.amdhsa_user_sgpr_private_segment_size 0
		.amdhsa_uses_dynamic_stack 0
		.amdhsa_system_sgpr_private_segment_wavefront_offset 0
		.amdhsa_system_sgpr_workgroup_id_x 1
		.amdhsa_system_sgpr_workgroup_id_y 1
		.amdhsa_system_sgpr_workgroup_id_z 0
		.amdhsa_system_sgpr_workgroup_info 0
		.amdhsa_system_vgpr_workitem_id 1
		.amdhsa_next_free_vgpr 21
		.amdhsa_next_free_sgpr 26
		.amdhsa_reserve_vcc 1
		.amdhsa_reserve_flat_scratch 0
		.amdhsa_float_round_mode_32 0
		.amdhsa_float_round_mode_16_64 0
		.amdhsa_float_denorm_mode_32 3
		.amdhsa_float_denorm_mode_16_64 3
		.amdhsa_dx10_clamp 1
		.amdhsa_ieee_mode 1
		.amdhsa_fp16_overflow 0
		.amdhsa_exception_fp_ieee_invalid_op 0
		.amdhsa_exception_fp_denorm_src 0
		.amdhsa_exception_fp_ieee_div_zero 0
		.amdhsa_exception_fp_ieee_overflow 0
		.amdhsa_exception_fp_ieee_underflow 0
		.amdhsa_exception_fp_ieee_inexact 0
		.amdhsa_exception_int_div_zero 0
	.end_amdhsa_kernel
	.section	.text._ZL11rope_visionILb1ELb1E6__halfEvPKT1_PS1_iiiiiiiiiiPKifff14rope_corr_dimsfPKf14mrope_sections,"axG",@progbits,_ZL11rope_visionILb1ELb1E6__halfEvPKT1_PS1_iiiiiiiiiiPKifff14rope_corr_dimsfPKf14mrope_sections,comdat
.Lfunc_end13:
	.size	_ZL11rope_visionILb1ELb1E6__halfEvPKT1_PS1_iiiiiiiiiiPKifff14rope_corr_dimsfPKf14mrope_sections, .Lfunc_end13-_ZL11rope_visionILb1ELb1E6__halfEvPKT1_PS1_iiiiiiiiiiPKifff14rope_corr_dimsfPKf14mrope_sections
                                        ; -- End function
	.set _ZL11rope_visionILb1ELb1E6__halfEvPKT1_PS1_iiiiiiiiiiPKifff14rope_corr_dimsfPKf14mrope_sections.num_vgpr, 21
	.set _ZL11rope_visionILb1ELb1E6__halfEvPKT1_PS1_iiiiiiiiiiPKifff14rope_corr_dimsfPKf14mrope_sections.num_agpr, 0
	.set _ZL11rope_visionILb1ELb1E6__halfEvPKT1_PS1_iiiiiiiiiiPKifff14rope_corr_dimsfPKf14mrope_sections.numbered_sgpr, 26
	.set _ZL11rope_visionILb1ELb1E6__halfEvPKT1_PS1_iiiiiiiiiiPKifff14rope_corr_dimsfPKf14mrope_sections.num_named_barrier, 0
	.set _ZL11rope_visionILb1ELb1E6__halfEvPKT1_PS1_iiiiiiiiiiPKifff14rope_corr_dimsfPKf14mrope_sections.private_seg_size, 0
	.set _ZL11rope_visionILb1ELb1E6__halfEvPKT1_PS1_iiiiiiiiiiPKifff14rope_corr_dimsfPKf14mrope_sections.uses_vcc, 1
	.set _ZL11rope_visionILb1ELb1E6__halfEvPKT1_PS1_iiiiiiiiiiPKifff14rope_corr_dimsfPKf14mrope_sections.uses_flat_scratch, 0
	.set _ZL11rope_visionILb1ELb1E6__halfEvPKT1_PS1_iiiiiiiiiiPKifff14rope_corr_dimsfPKf14mrope_sections.has_dyn_sized_stack, 0
	.set _ZL11rope_visionILb1ELb1E6__halfEvPKT1_PS1_iiiiiiiiiiPKifff14rope_corr_dimsfPKf14mrope_sections.has_recursion, 0
	.set _ZL11rope_visionILb1ELb1E6__halfEvPKT1_PS1_iiiiiiiiiiPKifff14rope_corr_dimsfPKf14mrope_sections.has_indirect_call, 0
	.section	.AMDGPU.csdata,"",@progbits
; Kernel info:
; codeLenInByte = 3852
; TotalNumSgprs: 30
; NumVgprs: 21
; ScratchSize: 0
; MemoryBound: 0
; FloatMode: 240
; IeeeMode: 1
; LDSByteSize: 0 bytes/workgroup (compile time only)
; SGPRBlocks: 3
; VGPRBlocks: 5
; NumSGPRsForWavesPerEU: 30
; NumVGPRsForWavesPerEU: 21
; Occupancy: 10
; WaveLimiterHint : 0
; COMPUTE_PGM_RSRC2:SCRATCH_EN: 0
; COMPUTE_PGM_RSRC2:USER_SGPR: 6
; COMPUTE_PGM_RSRC2:TRAP_HANDLER: 0
; COMPUTE_PGM_RSRC2:TGID_X_EN: 1
; COMPUTE_PGM_RSRC2:TGID_Y_EN: 1
; COMPUTE_PGM_RSRC2:TGID_Z_EN: 0
; COMPUTE_PGM_RSRC2:TIDIG_COMP_CNT: 1
	.section	.text._ZL9rope_normILb1ELb0EffEvPKT1_PT2_iiiiiiiiiiPKifff14rope_corr_dimsfPKfPKli,"axG",@progbits,_ZL9rope_normILb1ELb0EffEvPKT1_PT2_iiiiiiiiiiPKifff14rope_corr_dimsfPKfPKli,comdat
	.globl	_ZL9rope_normILb1ELb0EffEvPKT1_PT2_iiiiiiiiiiPKifff14rope_corr_dimsfPKfPKli ; -- Begin function _ZL9rope_normILb1ELb0EffEvPKT1_PT2_iiiiiiiiiiPKifff14rope_corr_dimsfPKfPKli
	.p2align	8
	.type	_ZL9rope_normILb1ELb0EffEvPKT1_PT2_iiiiiiiiiiPKifff14rope_corr_dimsfPKfPKli,@function
_ZL9rope_normILb1ELb0EffEvPKT1_PT2_iiiiiiiiiiPKifff14rope_corr_dimsfPKfPKli: ; @_ZL9rope_normILb1ELb0EffEvPKT1_PT2_iiiiiiiiiiPKifff14rope_corr_dimsfPKfPKli
; %bb.0:
	s_load_dword s2, s[4:5], 0x7c
	s_load_dwordx8 s[8:15], s[4:5], 0x10
	s_add_u32 s0, s4, 0x70
	s_addc_u32 s1, s5, 0
	s_waitcnt lgkmcnt(0)
	s_lshr_b32 s2, s2, 16
	s_mul_i32 s7, s7, s2
	v_add_lshl_u32 v4, s7, v1, 1
	v_cmp_gt_i32_e32 vcc, s8, v4
	s_and_saveexec_b64 s[2:3], vcc
	s_cbranch_execz .LBB14_19
; %bb.1:
	s_mul_i32 s2, s10, s9
	s_abs_i32 s3, s2
	v_cvt_f32_u32_e32 v1, s3
	s_load_dword s0, s[0:1], 0xc
	s_sub_i32 s1, 0, s3
	v_cvt_f32_u32_e32 v2, s9
	v_rcp_iflag_f32_e32 v1, v1
	s_waitcnt lgkmcnt(0)
	s_and_b32 s0, s0, 0xffff
	v_rcp_iflag_f32_e32 v2, v2
	v_mul_f32_e32 v1, 0x4f7ffffe, v1
	v_cvt_u32_f32_e32 v1, v1
	s_mul_i32 s6, s6, s0
	v_add_u32_e32 v0, s6, v0
	v_sub_u32_e32 v5, 0, v0
	v_mul_lo_u32 v3, s1, v1
	v_max_i32_e32 v5, v0, v5
	v_mul_f32_e32 v2, 0x4f7ffffe, v2
	v_cvt_u32_f32_e32 v6, v2
	v_mul_hi_u32 v3, v1, v3
	s_sub_i32 s0, 0, s9
	v_mul_lo_u32 v2, s0, v6
	v_add_u32_e32 v1, v1, v3
	v_mul_hi_u32 v1, v5, v1
	v_xor_b32_e32 v3, s2, v0
	v_mul_hi_u32 v8, v6, v2
	v_ashrrev_i32_e32 v3, 31, v3
	v_mul_lo_u32 v7, v1, s3
	v_add_u32_e32 v2, 1, v1
	s_load_dwordx2 s[0:1], s[4:5], 0x30
	v_sub_u32_e32 v5, v5, v7
	v_cmp_le_u32_e32 vcc, s3, v5
	v_cndmask_b32_e32 v1, v1, v2, vcc
	v_subrev_u32_e32 v2, s3, v5
	v_cndmask_b32_e32 v2, v5, v2, vcc
	v_add_u32_e32 v5, 1, v1
	v_cmp_le_u32_e32 vcc, s3, v2
	v_cndmask_b32_e32 v1, v1, v5, vcc
	v_xor_b32_e32 v1, v1, v3
	v_sub_u32_e32 v2, v1, v3
	v_mul_lo_u32 v1, s2, v2
	v_add_u32_e32 v5, v6, v8
	s_load_dword s2, s[4:5], 0x68
	v_sub_u32_e32 v3, v0, v1
	v_mul_hi_u32 v0, v3, v5
	s_waitcnt lgkmcnt(0)
	s_cmp_eq_u32 s2, 0
	v_mul_lo_u32 v1, v0, s9
	v_add_u32_e32 v5, 1, v0
	v_sub_u32_e32 v1, v3, v1
	v_cmp_le_u32_e32 vcc, s9, v1
	v_cndmask_b32_e32 v0, v0, v5, vcc
	v_subrev_u32_e32 v5, s9, v1
	v_cndmask_b32_e32 v1, v1, v5, vcc
	v_add_u32_e32 v5, 1, v0
	v_cmp_le_u32_e32 vcc, s9, v1
	v_cndmask_b32_e32 v5, v0, v5, vcc
	s_cbranch_scc1 .LBB14_3
; %bb.2:
	s_load_dwordx2 s[6:7], s[4:5], 0x60
	v_mov_b32_e32 v6, 0
	v_lshlrev_b64 v[0:1], 3, v[5:6]
	s_waitcnt lgkmcnt(0)
	v_mov_b32_e32 v6, s7
	v_add_co_u32_e32 v0, vcc, s6, v0
	v_addc_co_u32_e32 v1, vcc, v6, v1, vcc
	global_load_dword v0, v[0:1], off
	s_waitcnt vmcnt(0)
	v_mul_lo_u32 v0, s2, v0
	s_branch .LBB14_4
.LBB14_3:
	v_mul_lo_u32 v0, v2, s0
	v_mad_u64_u32 v[0:1], s[2:3], v5, s15, v[0:1]
.LBB14_4:
	v_mul_lo_u32 v6, v5, s9
	v_mad_u64_u32 v[1:2], s[2:3], v2, s13, v[4:5]
	v_mul_lo_u32 v7, v5, s12
	v_sub_u32_e32 v2, v3, v6
	v_mul_lo_u32 v3, v2, s11
	v_mul_lo_u32 v6, v2, s14
	s_load_dwordx4 s[8:11], s[4:5], 0x0
	v_cmp_le_i32_e32 vcc, s1, v4
	v_add3_u32 v2, v1, v7, v3
	v_add3_u32 v0, v6, v4, v0
	v_ashrrev_i32_e32 v3, 31, v2
	v_ashrrev_i32_e32 v1, 31, v0
	s_and_saveexec_b64 s[0:1], vcc
	s_xor_b64 s[0:1], exec, s[0:1]
	s_cbranch_execz .LBB14_6
; %bb.5:
	v_lshlrev_b64 v[2:3], 2, v[2:3]
	s_waitcnt lgkmcnt(0)
	v_mov_b32_e32 v4, s9
	v_add_co_u32_e32 v2, vcc, s8, v2
	v_addc_co_u32_e32 v3, vcc, v4, v3, vcc
	global_load_dwordx2 v[2:3], v[2:3], off
	v_lshlrev_b64 v[0:1], 2, v[0:1]
	v_mov_b32_e32 v4, s11
	v_add_co_u32_e32 v0, vcc, s10, v0
	v_addc_co_u32_e32 v1, vcc, v4, v1, vcc
                                        ; implicit-def: $vgpr5
                                        ; implicit-def: $vgpr4
	s_waitcnt vmcnt(0)
	global_store_dwordx2 v[0:1], v[2:3], off
                                        ; implicit-def: $vgpr2
                                        ; implicit-def: $vgpr0
.LBB14_6:
	s_andn2_saveexec_b64 s[0:1], s[0:1]
	s_cbranch_execz .LBB14_19
; %bb.7:
	s_load_dwordx2 s[0:1], s[4:5], 0x38
	v_mov_b32_e32 v6, 0
	v_lshlrev_b64 v[5:6], 2, v[5:6]
	v_mov_b32_e32 v10, 0x3e91f4c4
	v_mov_b32_e32 v11, 0x3ecccdef
	s_waitcnt lgkmcnt(0)
	v_mov_b32_e32 v7, s1
	v_add_co_u32_e32 v5, vcc, s0, v5
	v_addc_co_u32_e32 v6, vcc, v7, v6, vcc
	global_load_dword v7, v[5:6], off
	s_load_dwordx4 s[12:15], s[4:5], 0x40
	s_load_dwordx2 s[6:7], s[4:5], 0x50
	v_cvt_f32_i32_e32 v5, v4
	s_mov_b32 s0, 0x3f2aaaab
	s_mov_b32 s1, 0x3f317218
	s_movk_i32 s5, 0x204
	v_mul_f32_e32 v5, 0.5, v5
	s_waitcnt lgkmcnt(0)
	v_cmp_neq_f32_e64 vcc, s7, 1.0
	v_cndmask_b32_e32 v6, 1.0, v5, vcc
	v_mov_b32_e32 v5, s7
	v_cmp_neq_f32_e32 vcc, 0, v6
	v_cndmask_b32_e32 v5, 1.0, v5, vcc
	v_frexp_mant_f32_e64 v12, |v5|
	v_cmp_gt_f32_e32 vcc, s0, v12
	v_cndmask_b32_e64 v13, 1.0, 2.0, vcc
	v_mul_f32_e32 v12, v12, v13
	v_add_f32_e32 v14, 1.0, v12
	v_cvt_f64_f32_e64 v[8:9], |v5|
	v_rcp_f32_e32 v15, v14
	v_add_f32_e32 v13, -1.0, v12
	v_add_f32_e32 v16, -1.0, v14
	v_frexp_exp_i32_f64_e32 v8, v[8:9]
	v_sub_f32_e32 v9, v12, v16
	v_mul_f32_e32 v12, v13, v15
	v_mul_f32_e32 v16, v14, v12
	v_fma_f32 v14, v12, v14, -v16
	v_fmac_f32_e32 v14, v12, v9
	v_add_f32_e32 v9, v16, v14
	v_sub_f32_e32 v17, v13, v9
	v_sub_f32_e32 v16, v9, v16
	;; [unrolled: 1-line block ×5, first 2 shown]
	v_add_f32_e32 v9, v14, v9
	v_add_f32_e32 v9, v17, v9
	v_mul_f32_e32 v9, v15, v9
	v_add_f32_e32 v14, v12, v9
	v_sub_f32_e32 v12, v14, v12
	v_mul_f32_e32 v15, v14, v14
	v_sub_f32_e32 v9, v9, v12
	v_fma_f32 v12, v14, v14, -v15
	v_add_f32_e32 v16, v9, v9
	v_fmac_f32_e32 v12, v14, v16
	v_add_f32_e32 v16, v15, v12
	v_fmac_f32_e32 v10, 0x3e76c4e1, v16
	v_sub_f32_e32 v15, v16, v15
	v_mul_f32_e32 v17, v14, v16
	v_fmac_f32_e32 v11, v16, v10
	v_sub_f32_e32 v10, v12, v15
	v_fma_f32 v12, v16, v14, -v17
	v_fmac_f32_e32 v12, v16, v9
	v_mul_f32_e32 v15, v16, v11
	v_fmac_f32_e32 v12, v10, v14
	v_fma_f32 v16, v16, v11, -v15
	v_add_f32_e32 v18, v17, v12
	v_fmac_f32_e32 v16, v10, v11
	v_sub_f32_e32 v10, v18, v17
	v_add_f32_e32 v11, v15, v16
	v_sub_f32_e32 v10, v12, v10
	v_add_f32_e32 v12, 0x3f2aaaaa, v11
	v_sub_f32_e32 v15, v11, v15
	v_sub_f32_e32 v15, v16, v15
	v_add_f32_e32 v16, 0xbf2aaaaa, v12
	v_subbrev_co_u32_e32 v8, vcc, 0, v8, vcc
	v_add_f32_e32 v15, 0x31739010, v15
	v_sub_f32_e32 v11, v11, v16
	v_cvt_f32_i32_e32 v8, v8
	v_add_f32_e32 v11, v15, v11
	v_add_f32_e32 v15, v12, v11
	v_sub_f32_e32 v12, v12, v15
	v_mul_f32_e32 v16, v18, v15
	v_add_f32_e32 v11, v11, v12
	v_fma_f32 v12, v18, v15, -v16
	v_mul_f32_e32 v13, 0x3f317218, v8
	v_fmac_f32_e32 v12, v18, v11
	v_fmac_f32_e32 v12, v10, v15
	v_fma_f32 v10, v8, s1, -v13
	v_fmac_f32_e32 v10, 0xb102e308, v8
	v_add_f32_e32 v11, v13, v10
	v_sub_f32_e32 v13, v11, v13
	v_sub_f32_e32 v10, v10, v13
	v_add_f32_e32 v13, v16, v12
	v_ldexp_f32 v8, v9, 1
	v_ldexp_f32 v9, v14, 1
	v_sub_f32_e32 v14, v13, v16
	v_sub_f32_e32 v12, v12, v14
	v_add_f32_e32 v14, v9, v13
	v_sub_f32_e32 v9, v14, v9
	v_sub_f32_e32 v9, v13, v9
	v_add_f32_e32 v8, v8, v12
	v_add_f32_e32 v8, v8, v9
	;; [unrolled: 1-line block ×3, first 2 shown]
	v_sub_f32_e32 v12, v9, v14
	v_sub_f32_e32 v8, v8, v12
	v_add_f32_e32 v12, v11, v9
	v_sub_f32_e32 v13, v12, v11
	v_sub_f32_e32 v14, v12, v13
	;; [unrolled: 1-line block ×4, first 2 shown]
	v_add_f32_e32 v9, v9, v11
	v_add_f32_e32 v11, v10, v8
	v_sub_f32_e32 v13, v11, v10
	v_sub_f32_e32 v14, v11, v13
	;; [unrolled: 1-line block ×4, first 2 shown]
	v_add_f32_e32 v9, v11, v9
	v_add_f32_e32 v8, v8, v10
	;; [unrolled: 1-line block ×3, first 2 shown]
	v_sub_f32_e32 v11, v10, v12
	v_sub_f32_e32 v9, v9, v11
	v_add_f32_e32 v8, v8, v9
	v_add_f32_e32 v9, v10, v8
	v_sub_f32_e32 v10, v9, v10
	v_sub_f32_e32 v8, v8, v10
	v_mul_f32_e32 v10, v6, v9
	v_fma_f32 v9, v6, v9, -v10
	v_fmac_f32_e32 v9, v6, v8
	v_add_f32_e32 v8, v10, v9
	v_cmp_class_f32_e64 vcc, v10, s5
	v_sub_f32_e32 v11, v8, v10
	v_cndmask_b32_e32 v8, v8, v10, vcc
	s_mov_b32 s0, 0x42b17218
	v_mov_b32_e32 v10, 0x37000000
	v_cmp_eq_f32_e32 vcc, s0, v8
	v_cndmask_b32_e32 v10, 0, v10, vcc
	v_sub_f32_e32 v9, v9, v11
	v_sub_f32_e32 v11, v8, v10
	s_mov_b32 s1, 0x3fb8aa3b
	v_mul_f32_e32 v12, 0x3fb8aa3b, v11
	v_fma_f32 v13, v11, s1, -v12
	v_rndne_f32_e32 v14, v12
	v_fmac_f32_e32 v13, 0x32a5705f, v11
	v_sub_f32_e32 v12, v12, v14
	v_add_f32_e32 v12, v12, v13
	v_exp_f32_e32 v12, v12
	v_cvt_i32_f32_e32 v13, v14
	s_mov_b32 s4, 0x7f800000
	v_cmp_neq_f32_e64 vcc, |v8|, s4
	s_mov_b32 s1, 0xc2ce8ed0
	v_cndmask_b32_e32 v8, 0, v9, vcc
	v_ldexp_f32 v9, v12, v13
	v_cmp_ngt_f32_e32 vcc, s1, v11
	v_add_f32_e32 v8, v10, v8
	v_cndmask_b32_e32 v9, 0, v9, vcc
	v_mov_b32_e32 v10, 0x7f800000
	v_cmp_nlt_f32_e32 vcc, s0, v11
	v_cndmask_b32_e32 v9, v10, v9, vcc
	v_fma_f32 v8, v9, v8, v9
	v_cmp_class_f32_e64 vcc, v9, s5
	v_cndmask_b32_e32 v8, v8, v9, vcc
	v_trunc_f32_e32 v9, v6
	v_cmp_eq_f32_e32 vcc, v9, v6
	v_mul_f32_e32 v9, 0.5, v6
	v_trunc_f32_e32 v12, v9
	v_cmp_neq_f32_e64 s[0:1], v12, v9
	s_and_b64 s[0:1], vcc, s[0:1]
	v_cndmask_b32_e64 v9, 1.0, v5, s[0:1]
	s_brev_b32 s7, -2
	v_mov_b32_e32 v11, 0x7fc00000
	v_bfi_b32 v8, s7, v8, v9
	v_cmp_neq_f32_e64 s[2:3], v6, |v6|
	v_cmp_lt_f32_e64 s[16:17], |v5|, 1.0
	v_cndmask_b32_e32 v9, v11, v8, vcc
	v_cmp_gt_f32_e32 vcc, 0, v5
	s_xor_b64 s[2:3], s[2:3], s[16:17]
	v_cndmask_b32_e32 v8, v8, v9, vcc
	v_cndmask_b32_e64 v9, v10, 0, s[2:3]
	v_cmp_neq_f32_e64 vcc, |v5|, 1.0
	v_cndmask_b32_e32 v9, 1.0, v9, vcc
	v_cmp_class_f32_e64 vcc, v6, s5
	v_cndmask_b32_e32 v8, v8, v9, vcc
	v_cmp_eq_f32_e32 vcc, 0, v5
	v_cmp_gt_f32_e64 s[2:3], 0, v6
	s_xor_b64 s[2:3], s[2:3], vcc
	s_waitcnt vmcnt(0)
	v_cvt_f32_i32_e32 v7, v7
	v_cmp_class_f32_e64 s[16:17], v5, s5
	v_cndmask_b32_e64 v6, v10, 0, s[2:3]
	v_cndmask_b32_e64 v9, 0, v5, s[0:1]
	v_bfi_b32 v6, s7, v6, v9
	s_or_b64 vcc, vcc, s[16:17]
	v_cndmask_b32_e32 v6, v8, v6, vcc
	v_cmp_o_f32_e32 vcc, v5, v5
	v_cndmask_b32_e32 v5, v11, v6, vcc
	v_mul_f32_e32 v7, v5, v7
	v_cmp_eq_f32_e64 s[0:1], s13, 0
	v_mul_f32_e32 v5, s12, v7
	s_and_b64 vcc, exec, s[0:1]
	s_cbranch_vccnz .LBB14_9
; %bb.8:
	v_ashrrev_i32_e32 v4, 1, v4
	v_cvt_f32_i32_e32 v4, v4
	v_div_scale_f32 v8, s[0:1], s12, s12, 1.0
	v_mov_b32_e32 v6, s15
	v_sub_f32_e32 v6, s6, v6
	v_subrev_f32_e32 v4, s15, v4
	v_max_f32_e32 v6, 0x3a83126f, v6
	v_div_scale_f32 v9, s[0:1], v6, v6, v4
	v_div_scale_f32 v10, s[0:1], 1.0, s12, 1.0
	v_div_scale_f32 v11, vcc, v4, v6, v4
	s_mov_b32 s2, 0x3f317217
	v_rcp_f32_e32 v12, v8
	v_fma_f32 v13, -v8, v12, 1.0
	v_fmac_f32_e32 v12, v13, v12
	v_rcp_f32_e32 v13, v9
	v_mul_f32_e32 v14, v10, v12
	v_fma_f32 v15, -v8, v14, v10
	v_fmac_f32_e32 v14, v15, v12
	v_fma_f32 v8, -v8, v14, v10
	v_fma_f32 v10, -v9, v13, 1.0
	v_fmac_f32_e32 v13, v10, v13
	v_mul_f32_e32 v10, v11, v13
	v_fma_f32 v15, -v9, v10, v11
	v_fmac_f32_e32 v10, v15, v13
	v_fma_f32 v9, -v9, v10, v11
	v_div_fmas_f32 v9, v9, v13, v10
	s_mov_b64 vcc, s[0:1]
	v_div_fmas_f32 v8, v8, v12, v14
	s_mov_b32 s0, 0x800000
	v_mov_b32_e32 v10, 0x41b17218
	v_div_fixup_f32 v4, v9, v6, v4 clamp
	v_sub_f32_e32 v4, 1.0, v4
	v_div_fixup_f32 v6, v8, s12, 1.0
	v_cmp_gt_f32_e32 vcc, s0, v6
	s_and_b64 s[0:1], vcc, exec
	s_cselect_b32 s0, 32, 0
	v_ldexp_f32 v6, v6, s0
	v_log_f32_e32 v6, v6
	v_mul_f32_e32 v8, s13, v4
	v_fma_f32 v4, -s13, v4, 1.0
	v_mul_f32_e32 v5, v4, v5
	v_mul_f32_e32 v4, 0x3f317217, v6
	v_fma_f32 v4, v6, s2, -v4
	v_fmac_f32_e32 v4, 0x3377d1cf, v6
	v_cndmask_b32_e32 v9, 0, v10, vcc
	v_fmac_f32_e32 v4, 0x3f317217, v6
	v_cmp_lt_f32_e64 vcc, |v6|, s4
	v_cndmask_b32_e32 v4, v6, v4, vcc
	v_sub_f32_e32 v4, v4, v9
	s_mov_b32 s0, 0x3dcccccd
	v_fma_f32 v4, v4, s0, 1.0
	v_fmac_f32_e32 v5, v8, v7
	v_mul_f32_e32 v6, s14, v4
	s_branch .LBB14_10
.LBB14_9:
	v_mov_b32_e32 v6, s14
.LBB14_10:
	v_and_b32_e32 v4, 0x7fffffff, v5
	s_brev_b32 s0, 18
	v_cmp_nlt_f32_e64 s[6:7], |v5|, s0
	v_lshrrev_b32_e32 v9, 23, v4
                                        ; implicit-def: $vgpr8
                                        ; implicit-def: $vgpr7
	s_and_saveexec_b64 s[0:1], s[6:7]
	s_xor_b64 s[12:13], exec, s[0:1]
	s_cbranch_execz .LBB14_12
; %bb.11:
	v_and_b32_e32 v7, 0x7fffff, v4
	v_or_b32_e32 v18, 0x800000, v7
	s_mov_b32 s0, 0xfe5163ab
	v_mad_u64_u32 v[7:8], s[0:1], v18, s0, 0
	v_mov_b32_e32 v11, 0
	s_mov_b32 s0, 0x3c439041
	v_mov_b32_e32 v10, v8
	v_mad_u64_u32 v[12:13], s[0:1], v18, s0, v[10:11]
	s_mov_b32 s0, 0xdb629599
	v_add_u32_e32 v8, 0xffffff88, v9
	v_mov_b32_e32 v10, v13
	v_mad_u64_u32 v[13:14], s[0:1], v18, s0, v[10:11]
	s_mov_b32 s0, 0xf534ddc0
	v_not_b32_e32 v17, 63
	v_mov_b32_e32 v10, v14
	v_mad_u64_u32 v[14:15], s[0:1], v18, s0, v[10:11]
	s_mov_b32 s0, 0xfc2757d1
	v_cmp_lt_u32_e32 vcc, 63, v8
	v_mov_b32_e32 v10, v15
	v_mad_u64_u32 v[15:16], s[0:1], v18, s0, v[10:11]
	v_cndmask_b32_e32 v10, 0, v17, vcc
	v_add_u32_e32 v8, v10, v8
	v_mov_b32_e32 v10, v16
	s_mov_b32 s0, 0x4e441529
	v_mad_u64_u32 v[16:17], s[0:1], v18, s0, v[10:11]
	v_not_b32_e32 v19, 31
	v_cmp_lt_u32_e64 s[0:1], 31, v8
	v_cndmask_b32_e64 v10, 0, v19, s[0:1]
	v_add_u32_e32 v8, v10, v8
	v_mov_b32_e32 v10, v17
	s_mov_b32 s2, 0xa2f9836e
	v_mad_u64_u32 v[10:11], s[2:3], v18, s2, v[10:11]
	v_cmp_lt_u32_e64 s[2:3], 31, v8
	v_cndmask_b32_e64 v17, 0, v19, s[2:3]
	v_add_u32_e32 v8, v17, v8
	v_cndmask_b32_e32 v17, v16, v14, vcc
	v_cndmask_b32_e32 v10, v10, v15, vcc
	;; [unrolled: 1-line block ×3, first 2 shown]
	v_cndmask_b32_e64 v18, v10, v17, s[0:1]
	v_cndmask_b32_e64 v10, v11, v10, s[0:1]
	v_cndmask_b32_e32 v11, v15, v13, vcc
	v_cndmask_b32_e64 v15, v17, v11, s[0:1]
	v_cndmask_b32_e64 v10, v10, v18, s[2:3]
	;; [unrolled: 1-line block ×3, first 2 shown]
	v_sub_u32_e32 v17, 32, v8
	v_alignbit_b32 v18, v10, v16, v17
	v_cmp_eq_u32_e64 s[4:5], 0, v8
	v_cndmask_b32_e64 v8, v18, v10, s[4:5]
	v_cndmask_b32_e32 v10, v14, v12, vcc
	v_cndmask_b32_e64 v11, v11, v10, s[0:1]
	v_cndmask_b32_e64 v12, v15, v11, s[2:3]
	v_alignbit_b32 v14, v16, v12, v17
	v_cndmask_b32_e32 v7, v13, v7, vcc
	v_cndmask_b32_e64 v14, v14, v16, s[4:5]
	v_bfe_u32 v18, v8, 29, 1
	v_cndmask_b32_e64 v7, v10, v7, s[0:1]
	v_alignbit_b32 v15, v8, v14, 30
	v_sub_u32_e32 v19, 0, v18
	v_cndmask_b32_e64 v7, v11, v7, s[2:3]
	v_xor_b32_e32 v15, v15, v19
	v_alignbit_b32 v10, v12, v7, v17
	v_cndmask_b32_e64 v10, v10, v12, s[4:5]
	v_ffbh_u32_e32 v12, v15
	v_alignbit_b32 v11, v14, v10, 30
	v_min_u32_e32 v12, 32, v12
	v_alignbit_b32 v7, v10, v7, 30
	v_xor_b32_e32 v11, v11, v19
	v_sub_u32_e32 v13, 31, v12
	v_xor_b32_e32 v7, v7, v19
	v_alignbit_b32 v14, v15, v11, v13
	v_alignbit_b32 v7, v11, v7, v13
	;; [unrolled: 1-line block ×3, first 2 shown]
	v_ffbh_u32_e32 v11, v10
	v_min_u32_e32 v11, 32, v11
	v_lshrrev_b32_e32 v16, 29, v8
	v_not_b32_e32 v13, v11
	v_alignbit_b32 v7, v10, v7, v13
	v_lshlrev_b32_e32 v10, 31, v16
	v_or_b32_e32 v13, 0x33000000, v10
	v_add_lshl_u32 v11, v11, v12, 23
	v_lshrrev_b32_e32 v7, 9, v7
	v_sub_u32_e32 v11, v13, v11
	v_or_b32_e32 v10, 0.5, v10
	v_lshlrev_b32_e32 v12, 23, v12
	v_or_b32_e32 v7, v11, v7
	v_lshrrev_b32_e32 v11, 9, v14
	v_sub_u32_e32 v10, v10, v12
	v_or_b32_e32 v10, v11, v10
	s_mov_b32 s0, 0x3fc90fda
	v_mul_f32_e32 v11, 0x3fc90fda, v10
	v_fma_f32 v12, v10, s0, -v11
	v_fmac_f32_e32 v12, 0x33a22168, v10
	v_fmac_f32_e32 v12, 0x3fc90fda, v7
	v_lshrrev_b32_e32 v8, 30, v8
	v_add_f32_e32 v7, v11, v12
	v_add_u32_e32 v8, v18, v8
	s_andn2_saveexec_b64 s[0:1], s[12:13]
	s_cbranch_execz .LBB14_14
	s_branch .LBB14_13
.LBB14_12:
	s_andn2_saveexec_b64 s[0:1], s[12:13]
	s_cbranch_execz .LBB14_14
.LBB14_13:
	s_mov_b32 s2, 0x3f22f983
	v_mul_f32_e64 v7, |v5|, s2
	v_rndne_f32_e32 v10, v7
	s_mov_b32 s2, 0xbfc90fda
	v_cvt_i32_f32_e32 v8, v10
	v_fma_f32 v7, v10, s2, |v5|
	v_fmac_f32_e32 v7, 0xb3a22168, v10
	v_fmac_f32_e32 v7, 0xa7c234c4, v10
.LBB14_14:
	s_or_b64 exec, exec, s[0:1]
                                        ; implicit-def: $vgpr11
                                        ; implicit-def: $vgpr10
	s_and_saveexec_b64 s[0:1], s[6:7]
	s_xor_b64 s[6:7], exec, s[0:1]
	s_cbranch_execz .LBB14_16
; %bb.15:
	v_and_b32_e32 v10, 0x7fffff, v4
	v_or_b32_e32 v19, 0x800000, v10
	s_mov_b32 s0, 0xfe5163ab
	v_mad_u64_u32 v[10:11], s[0:1], v19, s0, 0
	v_mov_b32_e32 v12, 0
	s_mov_b32 s0, 0x3c439041
	v_mad_u64_u32 v[13:14], s[0:1], v19, s0, v[11:12]
	s_mov_b32 s0, 0xdb629599
	v_add_u32_e32 v9, 0xffffff88, v9
	v_mov_b32_e32 v11, v14
	v_mad_u64_u32 v[14:15], s[0:1], v19, s0, v[11:12]
	s_mov_b32 s0, 0xf534ddc0
	v_not_b32_e32 v18, 63
	v_mov_b32_e32 v11, v15
	v_mad_u64_u32 v[15:16], s[0:1], v19, s0, v[11:12]
	s_mov_b32 s0, 0xfc2757d1
	v_cmp_lt_u32_e32 vcc, 63, v9
	v_mov_b32_e32 v11, v16
	v_mad_u64_u32 v[16:17], s[0:1], v19, s0, v[11:12]
	v_cndmask_b32_e32 v11, 0, v18, vcc
	v_add_u32_e32 v9, v11, v9
	v_mov_b32_e32 v11, v17
	s_mov_b32 s0, 0x4e441529
	v_mad_u64_u32 v[17:18], s[0:1], v19, s0, v[11:12]
	v_not_b32_e32 v20, 31
	v_cmp_lt_u32_e64 s[0:1], 31, v9
	v_cndmask_b32_e64 v11, 0, v20, s[0:1]
	v_add_u32_e32 v9, v11, v9
	v_mov_b32_e32 v11, v18
	s_mov_b32 s2, 0xa2f9836e
	v_mad_u64_u32 v[11:12], s[2:3], v19, s2, v[11:12]
	v_cmp_lt_u32_e64 s[2:3], 31, v9
	v_cndmask_b32_e64 v18, 0, v20, s[2:3]
	v_add_u32_e32 v9, v18, v9
	v_cndmask_b32_e32 v18, v17, v15, vcc
	v_cndmask_b32_e32 v11, v11, v16, vcc
	v_cndmask_b32_e32 v12, v12, v17, vcc
	v_cndmask_b32_e64 v19, v11, v18, s[0:1]
	v_cndmask_b32_e64 v11, v12, v11, s[0:1]
	v_cndmask_b32_e32 v12, v16, v14, vcc
	v_cndmask_b32_e64 v16, v18, v12, s[0:1]
	v_cndmask_b32_e64 v11, v11, v19, s[2:3]
	;; [unrolled: 1-line block ×3, first 2 shown]
	v_sub_u32_e32 v18, 32, v9
	v_alignbit_b32 v19, v11, v17, v18
	v_cmp_eq_u32_e64 s[4:5], 0, v9
	v_cndmask_b32_e64 v9, v19, v11, s[4:5]
	v_cndmask_b32_e32 v11, v15, v13, vcc
	v_cndmask_b32_e64 v12, v12, v11, s[0:1]
	v_cndmask_b32_e64 v13, v16, v12, s[2:3]
	v_alignbit_b32 v15, v17, v13, v18
	v_cndmask_b32_e32 v10, v14, v10, vcc
	v_cndmask_b32_e64 v15, v15, v17, s[4:5]
	v_bfe_u32 v19, v9, 29, 1
	v_cndmask_b32_e64 v10, v11, v10, s[0:1]
	v_alignbit_b32 v16, v9, v15, 30
	v_sub_u32_e32 v20, 0, v19
	v_cndmask_b32_e64 v10, v12, v10, s[2:3]
	v_xor_b32_e32 v16, v16, v20
	v_alignbit_b32 v11, v13, v10, v18
	v_cndmask_b32_e64 v11, v11, v13, s[4:5]
	v_ffbh_u32_e32 v13, v16
	v_alignbit_b32 v12, v15, v11, 30
	v_min_u32_e32 v13, 32, v13
	v_alignbit_b32 v10, v11, v10, 30
	v_xor_b32_e32 v12, v12, v20
	v_sub_u32_e32 v14, 31, v13
	v_xor_b32_e32 v10, v10, v20
	v_alignbit_b32 v15, v16, v12, v14
	v_alignbit_b32 v10, v12, v10, v14
	;; [unrolled: 1-line block ×3, first 2 shown]
	v_ffbh_u32_e32 v12, v11
	v_min_u32_e32 v12, 32, v12
	v_lshrrev_b32_e32 v17, 29, v9
	v_not_b32_e32 v14, v12
	v_alignbit_b32 v10, v11, v10, v14
	v_lshlrev_b32_e32 v11, 31, v17
	v_or_b32_e32 v14, 0x33000000, v11
	v_add_lshl_u32 v12, v12, v13, 23
	v_lshrrev_b32_e32 v10, 9, v10
	v_sub_u32_e32 v12, v14, v12
	v_or_b32_e32 v11, 0.5, v11
	v_lshlrev_b32_e32 v13, 23, v13
	v_or_b32_e32 v10, v12, v10
	v_lshrrev_b32_e32 v12, 9, v15
	v_sub_u32_e32 v11, v11, v13
	v_or_b32_e32 v11, v12, v11
	s_mov_b32 s0, 0x3fc90fda
	v_mul_f32_e32 v12, 0x3fc90fda, v11
	v_fma_f32 v13, v11, s0, -v12
	v_fmac_f32_e32 v13, 0x33a22168, v11
	v_fmac_f32_e32 v13, 0x3fc90fda, v10
	v_lshrrev_b32_e32 v9, 30, v9
	v_add_f32_e32 v10, v12, v13
	v_add_u32_e32 v11, v19, v9
	s_andn2_saveexec_b64 s[0:1], s[6:7]
	s_cbranch_execnz .LBB14_17
	s_branch .LBB14_18
.LBB14_16:
	s_andn2_saveexec_b64 s[0:1], s[6:7]
	s_cbranch_execz .LBB14_18
.LBB14_17:
	s_mov_b32 s2, 0x3f22f983
	v_mul_f32_e64 v9, |v5|, s2
	v_rndne_f32_e32 v9, v9
	s_mov_b32 s2, 0xbfc90fda
	v_cvt_i32_f32_e32 v11, v9
	v_fma_f32 v10, v9, s2, |v5|
	v_fmac_f32_e32 v10, 0xb3a22168, v9
	v_fmac_f32_e32 v10, 0xa7c234c4, v9
.LBB14_18:
	s_or_b64 exec, exec, s[0:1]
	v_lshlrev_b64 v[2:3], 2, v[2:3]
	v_mov_b32_e32 v9, s9
	v_add_co_u32_e32 v2, vcc, s8, v2
	v_addc_co_u32_e32 v3, vcc, v9, v3, vcc
	global_load_dwordx2 v[2:3], v[2:3], off
	v_mul_f32_e32 v9, v7, v7
	v_mov_b32_e32 v13, 0x3c0881c4
	v_mov_b32_e32 v16, 0xbab64f3b
	;; [unrolled: 1-line block ×6, first 2 shown]
	v_mul_f32_e32 v19, v10, v10
	v_fmac_f32_e32 v13, 0xb94c1982, v9
	v_fmac_f32_e32 v16, 0x37d75334, v9
	v_mov_b32_e32 v18, 0xbf000004
	v_fmac_f32_e32 v12, 0xb94c1982, v19
	v_fma_f32 v13, v9, v13, v14
	v_fmac_f32_e32 v15, 0x37d75334, v19
	v_fma_f32 v16, v9, v16, v17
	v_fmac_f32_e32 v14, v19, v12
	v_and_b32_e32 v12, 1, v8
	v_fmac_f32_e32 v17, v19, v15
	v_fma_f32 v16, v9, v16, v18
	v_mul_f32_e32 v13, v9, v13
	v_lshlrev_b32_e32 v15, 30, v11
	v_and_b32_e32 v11, 1, v11
	v_fmac_f32_e32 v18, v19, v17
	v_mul_f32_e32 v14, v19, v14
	v_fmac_f32_e32 v7, v7, v13
	v_fma_f32 v9, v9, v16, 1.0
	v_cmp_eq_u32_e32 vcc, 0, v12
	v_xor_b32_e32 v4, v4, v5
	v_and_b32_e32 v15, 0x80000000, v15
	v_fmac_f32_e32 v10, v10, v14
	v_fma_f32 v13, v19, v18, 1.0
	v_cndmask_b32_e64 v7, -v7, v9, vcc
	v_cmp_eq_u32_e32 vcc, 0, v11
	v_lshlrev_b32_e32 v8, 30, v8
	s_movk_i32 s0, 0x1f8
	v_xor_b32_e32 v4, v4, v15
	v_cndmask_b32_e32 v9, v13, v10, vcc
	v_mov_b32_e32 v15, 0x7fc00000
	v_and_b32_e32 v8, 0x80000000, v8
	v_xor_b32_e32 v4, v4, v9
	v_cmp_class_f32_e64 vcc, v5, s0
	v_lshlrev_b64 v[0:1], 2, v[0:1]
	v_xor_b32_e32 v7, v8, v7
	v_cndmask_b32_e32 v4, v15, v4, vcc
	v_cndmask_b32_e32 v5, v15, v7, vcc
	v_mul_f32_e32 v4, v6, v4
	v_mov_b32_e32 v17, s11
	v_mul_f32_e32 v7, v6, v5
	v_add_co_u32_e32 v0, vcc, s10, v0
	v_addc_co_u32_e32 v1, vcc, v17, v1, vcc
	s_waitcnt vmcnt(0)
	v_mul_f32_e32 v6, v3, v4
	v_mul_f32_e32 v5, v2, v4
	v_fma_f32 v4, v7, v2, -v6
	v_fmac_f32_e32 v5, v7, v3
	global_store_dwordx2 v[0:1], v[4:5], off
.LBB14_19:
	s_endpgm
	.section	.rodata,"a",@progbits
	.p2align	6, 0x0
	.amdhsa_kernel _ZL9rope_normILb1ELb0EffEvPKT1_PT2_iiiiiiiiiiPKifff14rope_corr_dimsfPKfPKli
		.amdhsa_group_segment_fixed_size 0
		.amdhsa_private_segment_fixed_size 0
		.amdhsa_kernarg_size 368
		.amdhsa_user_sgpr_count 6
		.amdhsa_user_sgpr_private_segment_buffer 1
		.amdhsa_user_sgpr_dispatch_ptr 0
		.amdhsa_user_sgpr_queue_ptr 0
		.amdhsa_user_sgpr_kernarg_segment_ptr 1
		.amdhsa_user_sgpr_dispatch_id 0
		.amdhsa_user_sgpr_flat_scratch_init 0
		.amdhsa_user_sgpr_private_segment_size 0
		.amdhsa_uses_dynamic_stack 0
		.amdhsa_system_sgpr_private_segment_wavefront_offset 0
		.amdhsa_system_sgpr_workgroup_id_x 1
		.amdhsa_system_sgpr_workgroup_id_y 1
		.amdhsa_system_sgpr_workgroup_id_z 0
		.amdhsa_system_sgpr_workgroup_info 0
		.amdhsa_system_vgpr_workitem_id 1
		.amdhsa_next_free_vgpr 21
		.amdhsa_next_free_sgpr 18
		.amdhsa_reserve_vcc 1
		.amdhsa_reserve_flat_scratch 0
		.amdhsa_float_round_mode_32 0
		.amdhsa_float_round_mode_16_64 0
		.amdhsa_float_denorm_mode_32 3
		.amdhsa_float_denorm_mode_16_64 3
		.amdhsa_dx10_clamp 1
		.amdhsa_ieee_mode 1
		.amdhsa_fp16_overflow 0
		.amdhsa_exception_fp_ieee_invalid_op 0
		.amdhsa_exception_fp_denorm_src 0
		.amdhsa_exception_fp_ieee_div_zero 0
		.amdhsa_exception_fp_ieee_overflow 0
		.amdhsa_exception_fp_ieee_underflow 0
		.amdhsa_exception_fp_ieee_inexact 0
		.amdhsa_exception_int_div_zero 0
	.end_amdhsa_kernel
	.section	.text._ZL9rope_normILb1ELb0EffEvPKT1_PT2_iiiiiiiiiiPKifff14rope_corr_dimsfPKfPKli,"axG",@progbits,_ZL9rope_normILb1ELb0EffEvPKT1_PT2_iiiiiiiiiiPKifff14rope_corr_dimsfPKfPKli,comdat
.Lfunc_end14:
	.size	_ZL9rope_normILb1ELb0EffEvPKT1_PT2_iiiiiiiiiiPKifff14rope_corr_dimsfPKfPKli, .Lfunc_end14-_ZL9rope_normILb1ELb0EffEvPKT1_PT2_iiiiiiiiiiPKifff14rope_corr_dimsfPKfPKli
                                        ; -- End function
	.set _ZL9rope_normILb1ELb0EffEvPKT1_PT2_iiiiiiiiiiPKifff14rope_corr_dimsfPKfPKli.num_vgpr, 21
	.set _ZL9rope_normILb1ELb0EffEvPKT1_PT2_iiiiiiiiiiPKifff14rope_corr_dimsfPKfPKli.num_agpr, 0
	.set _ZL9rope_normILb1ELb0EffEvPKT1_PT2_iiiiiiiiiiPKifff14rope_corr_dimsfPKfPKli.numbered_sgpr, 18
	.set _ZL9rope_normILb1ELb0EffEvPKT1_PT2_iiiiiiiiiiPKifff14rope_corr_dimsfPKfPKli.num_named_barrier, 0
	.set _ZL9rope_normILb1ELb0EffEvPKT1_PT2_iiiiiiiiiiPKifff14rope_corr_dimsfPKfPKli.private_seg_size, 0
	.set _ZL9rope_normILb1ELb0EffEvPKT1_PT2_iiiiiiiiiiPKifff14rope_corr_dimsfPKfPKli.uses_vcc, 1
	.set _ZL9rope_normILb1ELb0EffEvPKT1_PT2_iiiiiiiiiiPKifff14rope_corr_dimsfPKfPKli.uses_flat_scratch, 0
	.set _ZL9rope_normILb1ELb0EffEvPKT1_PT2_iiiiiiiiiiPKifff14rope_corr_dimsfPKfPKli.has_dyn_sized_stack, 0
	.set _ZL9rope_normILb1ELb0EffEvPKT1_PT2_iiiiiiiiiiPKifff14rope_corr_dimsfPKfPKli.has_recursion, 0
	.set _ZL9rope_normILb1ELb0EffEvPKT1_PT2_iiiiiiiiiiPKifff14rope_corr_dimsfPKfPKli.has_indirect_call, 0
	.section	.AMDGPU.csdata,"",@progbits
; Kernel info:
; codeLenInByte = 3688
; TotalNumSgprs: 22
; NumVgprs: 21
; ScratchSize: 0
; MemoryBound: 0
; FloatMode: 240
; IeeeMode: 1
; LDSByteSize: 0 bytes/workgroup (compile time only)
; SGPRBlocks: 2
; VGPRBlocks: 5
; NumSGPRsForWavesPerEU: 22
; NumVGPRsForWavesPerEU: 21
; Occupancy: 10
; WaveLimiterHint : 0
; COMPUTE_PGM_RSRC2:SCRATCH_EN: 0
; COMPUTE_PGM_RSRC2:USER_SGPR: 6
; COMPUTE_PGM_RSRC2:TRAP_HANDLER: 0
; COMPUTE_PGM_RSRC2:TGID_X_EN: 1
; COMPUTE_PGM_RSRC2:TGID_Y_EN: 1
; COMPUTE_PGM_RSRC2:TGID_Z_EN: 0
; COMPUTE_PGM_RSRC2:TIDIG_COMP_CNT: 1
	.section	.text._ZL9rope_normILb1ELb1EffEvPKT1_PT2_iiiiiiiiiiPKifff14rope_corr_dimsfPKfPKli,"axG",@progbits,_ZL9rope_normILb1ELb1EffEvPKT1_PT2_iiiiiiiiiiPKifff14rope_corr_dimsfPKfPKli,comdat
	.globl	_ZL9rope_normILb1ELb1EffEvPKT1_PT2_iiiiiiiiiiPKifff14rope_corr_dimsfPKfPKli ; -- Begin function _ZL9rope_normILb1ELb1EffEvPKT1_PT2_iiiiiiiiiiPKifff14rope_corr_dimsfPKfPKli
	.p2align	8
	.type	_ZL9rope_normILb1ELb1EffEvPKT1_PT2_iiiiiiiiiiPKifff14rope_corr_dimsfPKfPKli,@function
_ZL9rope_normILb1ELb1EffEvPKT1_PT2_iiiiiiiiiiPKifff14rope_corr_dimsfPKfPKli: ; @_ZL9rope_normILb1ELb1EffEvPKT1_PT2_iiiiiiiiiiPKifff14rope_corr_dimsfPKfPKli
; %bb.0:
	s_load_dword s2, s[4:5], 0x7c
	s_load_dwordx8 s[8:15], s[4:5], 0x10
	s_add_u32 s0, s4, 0x70
	s_addc_u32 s1, s5, 0
	s_waitcnt lgkmcnt(0)
	s_lshr_b32 s2, s2, 16
	s_mul_i32 s7, s7, s2
	v_add_lshl_u32 v4, s7, v1, 1
	v_cmp_gt_i32_e32 vcc, s8, v4
	s_and_saveexec_b64 s[2:3], vcc
	s_cbranch_execz .LBB15_19
; %bb.1:
	s_mul_i32 s2, s10, s9
	s_abs_i32 s3, s2
	v_cvt_f32_u32_e32 v1, s3
	s_load_dword s0, s[0:1], 0xc
	s_sub_i32 s1, 0, s3
	v_cvt_f32_u32_e32 v2, s9
	v_rcp_iflag_f32_e32 v1, v1
	s_load_dword s8, s[4:5], 0x68
	s_waitcnt lgkmcnt(0)
	s_and_b32 s0, s0, 0xffff
	v_rcp_iflag_f32_e32 v2, v2
	v_mul_f32_e32 v1, 0x4f7ffffe, v1
	v_cvt_u32_f32_e32 v1, v1
	s_mul_i32 s6, s6, s0
	v_add_u32_e32 v0, s6, v0
	v_sub_u32_e32 v5, 0, v0
	v_mul_lo_u32 v3, s1, v1
	v_max_i32_e32 v5, v0, v5
	v_mul_f32_e32 v2, 0x4f7ffffe, v2
	v_cvt_u32_f32_e32 v6, v2
	v_mul_hi_u32 v3, v1, v3
	s_sub_i32 s0, 0, s9
	s_cmp_eq_u32 s8, 0
	v_mul_lo_u32 v2, s0, v6
	v_add_u32_e32 v1, v1, v3
	v_mul_hi_u32 v1, v5, v1
	v_xor_b32_e32 v3, s2, v0
	v_mul_hi_u32 v8, v6, v2
	v_ashrrev_i32_e32 v3, 31, v3
	v_mul_lo_u32 v7, v1, s3
	v_add_u32_e32 v2, 1, v1
	v_sub_u32_e32 v5, v5, v7
	v_cmp_le_u32_e32 vcc, s3, v5
	v_cndmask_b32_e32 v1, v1, v2, vcc
	v_subrev_u32_e32 v2, s3, v5
	v_cndmask_b32_e32 v2, v5, v2, vcc
	v_add_u32_e32 v5, 1, v1
	v_cmp_le_u32_e32 vcc, s3, v2
	v_cndmask_b32_e32 v1, v1, v5, vcc
	v_xor_b32_e32 v1, v1, v3
	v_sub_u32_e32 v2, v1, v3
	v_mul_lo_u32 v1, s2, v2
	v_add_u32_e32 v5, v6, v8
	s_load_dwordx2 s[6:7], s[4:5], 0x30
	s_load_dwordx4 s[0:3], s[4:5], 0x58
	v_sub_u32_e32 v3, v0, v1
	v_mul_hi_u32 v0, v3, v5
	v_mul_lo_u32 v1, v0, s9
	v_add_u32_e32 v5, 1, v0
	v_sub_u32_e32 v1, v3, v1
	v_cmp_le_u32_e32 vcc, s9, v1
	v_cndmask_b32_e32 v0, v0, v5, vcc
	v_subrev_u32_e32 v5, s9, v1
	v_cndmask_b32_e32 v1, v1, v5, vcc
	v_add_u32_e32 v5, 1, v0
	v_cmp_le_u32_e32 vcc, s9, v1
	v_cndmask_b32_e32 v5, v0, v5, vcc
	s_cbranch_scc1 .LBB15_3
; %bb.2:
	v_mov_b32_e32 v6, 0
	v_lshlrev_b64 v[0:1], 3, v[5:6]
	s_waitcnt lgkmcnt(0)
	v_mov_b32_e32 v6, s3
	v_add_co_u32_e32 v0, vcc, s2, v0
	v_addc_co_u32_e32 v1, vcc, v6, v1, vcc
	global_load_dword v0, v[0:1], off
	s_waitcnt vmcnt(0)
	v_mul_lo_u32 v0, s8, v0
	s_branch .LBB15_4
.LBB15_3:
	s_waitcnt lgkmcnt(0)
	v_mul_lo_u32 v0, v2, s6
	v_mad_u64_u32 v[0:1], s[2:3], v5, s15, v[0:1]
.LBB15_4:
	v_mul_lo_u32 v6, v5, s9
	v_mad_u64_u32 v[1:2], s[2:3], v2, s13, v[4:5]
	v_mul_lo_u32 v7, v5, s12
	v_sub_u32_e32 v2, v3, v6
	v_mul_lo_u32 v3, v2, s11
	v_mul_lo_u32 v6, v2, s14
	s_load_dwordx4 s[8:11], s[4:5], 0x0
	v_cmp_le_i32_e32 vcc, s7, v4
	v_add3_u32 v2, v1, v7, v3
	v_add3_u32 v0, v6, v4, v0
	v_ashrrev_i32_e32 v3, 31, v2
	v_ashrrev_i32_e32 v1, 31, v0
	s_and_saveexec_b64 s[2:3], vcc
	s_xor_b64 s[2:3], exec, s[2:3]
	s_cbranch_execz .LBB15_6
; %bb.5:
	v_lshlrev_b64 v[2:3], 2, v[2:3]
	s_waitcnt lgkmcnt(0)
	v_mov_b32_e32 v4, s9
	v_add_co_u32_e32 v2, vcc, s8, v2
	v_addc_co_u32_e32 v3, vcc, v4, v3, vcc
	global_load_dwordx2 v[2:3], v[2:3], off
	v_lshlrev_b64 v[0:1], 2, v[0:1]
	v_mov_b32_e32 v4, s11
	v_add_co_u32_e32 v0, vcc, s10, v0
	v_addc_co_u32_e32 v1, vcc, v4, v1, vcc
                                        ; implicit-def: $vgpr5
                                        ; implicit-def: $vgpr4
	s_waitcnt vmcnt(0)
	global_store_dwordx2 v[0:1], v[2:3], off
                                        ; implicit-def: $vgpr2
                                        ; implicit-def: $vgpr0
.LBB15_6:
	s_andn2_saveexec_b64 s[2:3], s[2:3]
	s_cbranch_execz .LBB15_19
; %bb.7:
	s_load_dwordx2 s[2:3], s[4:5], 0x38
	s_load_dwordx2 s[12:13], s[4:5], 0x50
	v_mov_b32_e32 v6, 0
	v_lshlrev_b64 v[5:6], 2, v[5:6]
	v_mov_b32_e32 v10, 0x3e91f4c4
	s_waitcnt lgkmcnt(0)
	v_mov_b32_e32 v7, s3
	v_add_co_u32_e32 v5, vcc, s2, v5
	v_addc_co_u32_e32 v6, vcc, v7, v6, vcc
	global_load_dword v5, v[5:6], off
	v_cvt_f32_i32_e32 v6, v4
	v_cmp_neq_f32_e64 vcc, s13, 1.0
	s_mov_b32 s2, 0x3f2aaaab
	v_mov_b32_e32 v11, 0x3ecccdef
	v_mul_f32_e32 v6, 0.5, v6
	v_cndmask_b32_e32 v7, 1.0, v6, vcc
	v_mov_b32_e32 v6, s13
	v_cmp_neq_f32_e32 vcc, 0, v7
	v_cndmask_b32_e32 v6, 1.0, v6, vcc
	v_frexp_mant_f32_e64 v12, |v6|
	v_cmp_gt_f32_e32 vcc, s2, v12
	v_cvt_f64_f32_e64 v[8:9], |v6|
	v_cndmask_b32_e64 v13, 1.0, 2.0, vcc
	v_mul_f32_e32 v12, v12, v13
	v_add_f32_e32 v14, 1.0, v12
	v_rcp_f32_e32 v15, v14
	v_frexp_exp_i32_f64_e32 v8, v[8:9]
	v_add_f32_e32 v13, -1.0, v12
	v_add_f32_e32 v16, -1.0, v14
	v_sub_f32_e32 v9, v12, v16
	v_mul_f32_e32 v12, v13, v15
	v_mul_f32_e32 v16, v14, v12
	v_fma_f32 v14, v12, v14, -v16
	v_fmac_f32_e32 v14, v12, v9
	v_add_f32_e32 v9, v16, v14
	v_subbrev_co_u32_e32 v8, vcc, 0, v8, vcc
	v_sub_f32_e32 v17, v13, v9
	v_sub_f32_e32 v16, v9, v16
	v_cvt_f32_i32_e32 v18, v8
	v_sub_f32_e32 v8, v13, v17
	v_sub_f32_e32 v13, v16, v14
	;; [unrolled: 1-line block ×3, first 2 shown]
	v_add_f32_e32 v8, v13, v8
	v_add_f32_e32 v8, v17, v8
	v_mul_f32_e32 v8, v15, v8
	v_add_f32_e32 v14, v12, v8
	v_sub_f32_e32 v12, v14, v12
	v_mul_f32_e32 v15, v14, v14
	v_sub_f32_e32 v12, v8, v12
	v_fma_f32 v8, v14, v14, -v15
	v_add_f32_e32 v16, v12, v12
	v_fmac_f32_e32 v8, v14, v16
	v_add_f32_e32 v16, v15, v8
	v_fmac_f32_e32 v10, 0x3e76c4e1, v16
	v_mul_f32_e32 v17, v14, v16
	v_sub_f32_e32 v15, v16, v15
	v_fmac_f32_e32 v11, v16, v10
	v_fma_f32 v10, v16, v14, -v17
	v_sub_f32_e32 v8, v8, v15
	v_fmac_f32_e32 v10, v16, v12
	v_mul_f32_e32 v15, v16, v11
	v_fmac_f32_e32 v10, v8, v14
	v_fma_f32 v16, v16, v11, -v15
	v_add_f32_e32 v19, v17, v10
	v_fmac_f32_e32 v16, v8, v11
	v_sub_f32_e32 v8, v19, v17
	v_add_f32_e32 v11, v15, v16
	v_sub_f32_e32 v8, v10, v8
	v_add_f32_e32 v10, 0x3f2aaaaa, v11
	v_sub_f32_e32 v15, v11, v15
	v_sub_f32_e32 v15, v16, v15
	v_add_f32_e32 v16, 0xbf2aaaaa, v10
	v_add_f32_e32 v15, 0x31739010, v15
	v_sub_f32_e32 v11, v11, v16
	v_add_f32_e32 v11, v15, v11
	v_add_f32_e32 v15, v10, v11
	s_mov_b32 s3, 0x3f317218
	v_mul_f32_e32 v9, 0x3f317218, v18
	v_sub_f32_e32 v10, v10, v15
	v_mul_f32_e32 v16, v19, v15
	v_fma_f32 v13, v18, s3, -v9
	v_add_f32_e32 v10, v11, v10
	v_fma_f32 v11, v19, v15, -v16
	v_fmac_f32_e32 v11, v19, v10
	v_fmac_f32_e32 v13, 0xb102e308, v18
	v_fmac_f32_e32 v11, v8, v15
	v_ldexp_f32 v10, v14, 1
	v_ashrrev_i32_e32 v4, 1, v4
	s_waitcnt vmcnt(0)
	v_cvt_f32_i32_e32 v8, v5
	v_ldexp_f32 v5, v12, 1
	v_add_f32_e32 v12, v9, v13
	v_sub_f32_e32 v9, v12, v9
	v_sub_f32_e32 v9, v13, v9
	v_add_f32_e32 v13, v16, v11
	v_sub_f32_e32 v14, v13, v16
	v_sub_f32_e32 v11, v11, v14
	;; [unrolled: 3-line block ×3, first 2 shown]
	v_add_f32_e32 v5, v5, v11
	v_add_f32_e32 v5, v5, v10
	;; [unrolled: 1-line block ×3, first 2 shown]
	v_sub_f32_e32 v11, v10, v14
	v_sub_f32_e32 v5, v5, v11
	v_add_f32_e32 v11, v12, v10
	v_sub_f32_e32 v13, v11, v12
	v_sub_f32_e32 v14, v11, v13
	v_sub_f32_e32 v12, v12, v14
	v_sub_f32_e32 v10, v10, v13
	v_add_f32_e32 v13, v9, v5
	v_add_f32_e32 v12, v10, v12
	v_sub_f32_e32 v10, v13, v9
	v_sub_f32_e32 v14, v13, v10
	;; [unrolled: 1-line block ×4, first 2 shown]
	v_add_f32_e32 v14, v5, v9
	v_ashrrev_i32_e32 v5, 31, v4
	v_lshlrev_b64 v[9:10], 2, v[4:5]
	v_mov_b32_e32 v5, s1
	v_add_co_u32_e32 v9, vcc, s0, v9
	v_addc_co_u32_e32 v10, vcc, v5, v10, vcc
	global_load_dword v5, v[9:10], off
	v_add_f32_e32 v9, v13, v12
	v_add_f32_e32 v10, v11, v9
	v_sub_f32_e32 v11, v10, v11
	v_sub_f32_e32 v9, v9, v11
	v_add_f32_e32 v9, v14, v9
	v_add_f32_e32 v11, v10, v9
	v_sub_f32_e32 v10, v11, v10
	v_sub_f32_e32 v9, v9, v10
	v_mul_f32_e32 v10, v7, v11
	v_fma_f32 v11, v7, v11, -v10
	v_fmac_f32_e32 v11, v7, v9
	s_movk_i32 s14, 0x204
	v_add_f32_e32 v9, v10, v11
	v_cmp_class_f32_e64 vcc, v10, s14
	v_sub_f32_e32 v12, v9, v10
	v_cndmask_b32_e32 v9, v9, v10, vcc
	s_mov_b32 s0, 0x42b17218
	v_mov_b32_e32 v10, 0x37000000
	v_cmp_eq_f32_e32 vcc, s0, v9
	v_cndmask_b32_e32 v10, 0, v10, vcc
	v_sub_f32_e32 v11, v11, v12
	v_sub_f32_e32 v12, v9, v10
	s_mov_b32 s1, 0x3fb8aa3b
	v_mul_f32_e32 v13, 0x3fb8aa3b, v12
	v_fma_f32 v14, v12, s1, -v13
	v_rndne_f32_e32 v15, v13
	v_fmac_f32_e32 v14, 0x32a5705f, v12
	v_sub_f32_e32 v13, v13, v15
	v_add_f32_e32 v13, v13, v14
	v_exp_f32_e32 v13, v13
	v_cvt_i32_f32_e32 v14, v15
	s_mov_b32 s13, 0x7f800000
	v_cmp_neq_f32_e64 vcc, |v9|, s13
	v_cndmask_b32_e32 v9, 0, v11, vcc
	s_mov_b32 s1, 0xc2ce8ed0
	v_add_f32_e32 v9, v10, v9
	v_ldexp_f32 v10, v13, v14
	v_cmp_ngt_f32_e32 vcc, s1, v12
	v_cndmask_b32_e32 v10, 0, v10, vcc
	v_mov_b32_e32 v11, 0x7f800000
	v_cmp_nlt_f32_e32 vcc, s0, v12
	v_cndmask_b32_e32 v10, v11, v10, vcc
	v_fma_f32 v9, v10, v9, v10
	v_cmp_class_f32_e64 vcc, v10, s14
	v_cndmask_b32_e32 v9, v9, v10, vcc
	v_trunc_f32_e32 v10, v7
	v_cmp_eq_f32_e32 vcc, v10, v7
	v_mul_f32_e32 v10, 0.5, v7
	v_trunc_f32_e32 v13, v10
	v_cmp_neq_f32_e64 s[0:1], v13, v10
	s_and_b64 s[0:1], vcc, s[0:1]
	v_cndmask_b32_e64 v10, 1.0, v6, s[0:1]
	s_brev_b32 s15, -2
	v_mov_b32_e32 v12, 0x7fc00000
	v_bfi_b32 v9, s15, v9, v10
	v_cmp_neq_f32_e64 s[2:3], v7, |v7|
	v_cmp_lt_f32_e64 s[6:7], |v6|, 1.0
	v_cndmask_b32_e32 v10, v12, v9, vcc
	v_cmp_gt_f32_e32 vcc, 0, v6
	s_xor_b64 s[2:3], s[2:3], s[6:7]
	v_cndmask_b32_e32 v9, v9, v10, vcc
	v_cndmask_b32_e64 v10, v11, 0, s[2:3]
	v_cmp_neq_f32_e64 vcc, |v6|, 1.0
	v_cndmask_b32_e32 v10, 1.0, v10, vcc
	v_cmp_class_f32_e64 vcc, v7, s14
	v_cndmask_b32_e32 v9, v9, v10, vcc
	v_cmp_eq_f32_e32 vcc, 0, v6
	v_cmp_gt_f32_e64 s[2:3], 0, v7
	s_xor_b64 s[2:3], s[2:3], vcc
	v_cmp_class_f32_e64 s[6:7], v6, s14
	v_cndmask_b32_e64 v7, v11, 0, s[2:3]
	v_cndmask_b32_e64 v10, 0, v6, s[0:1]
	v_bfi_b32 v7, s15, v7, v10
	s_or_b64 vcc, vcc, s[6:7]
	v_cndmask_b32_e32 v7, v9, v7, vcc
	v_cmp_o_f32_e32 vcc, v6, v6
	v_cndmask_b32_e32 v6, v12, v7, vcc
	v_mul_f32_e32 v6, v6, v8
	s_load_dwordx4 s[4:7], s[4:5], 0x40
	s_waitcnt vmcnt(0)
	v_div_scale_f32 v7, s[0:1], v5, v5, v6
	v_div_scale_f32 v8, vcc, v6, v5, v6
	s_waitcnt lgkmcnt(0)
	v_cmp_eq_f32_e64 s[0:1], s5, 0
	v_rcp_f32_e32 v9, v7
	v_fma_f32 v10, -v7, v9, 1.0
	v_fmac_f32_e32 v9, v10, v9
	v_mul_f32_e32 v10, v8, v9
	v_fma_f32 v11, -v7, v10, v8
	v_fmac_f32_e32 v10, v11, v9
	v_fma_f32 v7, -v7, v10, v8
	v_div_fmas_f32 v7, v7, v9, v10
	s_and_b64 vcc, exec, s[0:1]
	v_div_fixup_f32 v7, v7, v5, v6
	v_mul_f32_e32 v5, s4, v7
	s_cbranch_vccnz .LBB15_9
; %bb.8:
	v_cvt_f32_i32_e32 v4, v4
	v_div_scale_f32 v8, s[0:1], s4, s4, 1.0
	v_mov_b32_e32 v6, s7
	v_sub_f32_e32 v6, s12, v6
	v_subrev_f32_e32 v4, s7, v4
	v_max_f32_e32 v6, 0x3a83126f, v6
	v_div_scale_f32 v9, s[0:1], v6, v6, v4
	v_div_scale_f32 v10, s[0:1], 1.0, s4, 1.0
	v_div_scale_f32 v11, vcc, v4, v6, v4
	s_mov_b32 s2, 0x3f317217
	v_rcp_f32_e32 v12, v8
	v_fma_f32 v13, -v8, v12, 1.0
	v_fmac_f32_e32 v12, v13, v12
	v_rcp_f32_e32 v14, v9
	v_mul_f32_e32 v13, v10, v12
	v_fma_f32 v15, -v8, v13, v10
	v_fmac_f32_e32 v13, v15, v12
	v_fma_f32 v15, -v9, v14, 1.0
	v_fmac_f32_e32 v14, v15, v14
	v_fma_f32 v8, -v8, v13, v10
	v_mul_f32_e32 v10, v11, v14
	v_fma_f32 v15, -v9, v10, v11
	v_fmac_f32_e32 v10, v15, v14
	v_fma_f32 v9, -v9, v10, v11
	v_div_fmas_f32 v9, v9, v14, v10
	s_mov_b64 vcc, s[0:1]
	v_div_fmas_f32 v8, v8, v12, v13
	s_mov_b32 s0, 0x800000
	v_mov_b32_e32 v10, 0x41b17218
	v_div_fixup_f32 v4, v9, v6, v4 clamp
	v_sub_f32_e32 v4, 1.0, v4
	v_div_fixup_f32 v6, v8, s4, 1.0
	v_cmp_gt_f32_e32 vcc, s0, v6
	s_and_b64 s[0:1], vcc, exec
	s_cselect_b32 s0, 32, 0
	v_ldexp_f32 v6, v6, s0
	v_log_f32_e32 v6, v6
	v_mul_f32_e32 v8, s5, v4
	v_fma_f32 v4, -s5, v4, 1.0
	v_mul_f32_e32 v5, v4, v5
	v_mul_f32_e32 v4, 0x3f317217, v6
	v_fma_f32 v4, v6, s2, -v4
	v_fmac_f32_e32 v4, 0x3377d1cf, v6
	v_cndmask_b32_e32 v9, 0, v10, vcc
	v_fmac_f32_e32 v4, 0x3f317217, v6
	v_cmp_lt_f32_e64 vcc, |v6|, s13
	v_cndmask_b32_e32 v4, v6, v4, vcc
	v_sub_f32_e32 v4, v4, v9
	s_mov_b32 s0, 0x3dcccccd
	v_fma_f32 v4, v4, s0, 1.0
	v_fmac_f32_e32 v5, v8, v7
	v_mul_f32_e32 v6, s6, v4
	s_branch .LBB15_10
.LBB15_9:
	v_mov_b32_e32 v6, s6
.LBB15_10:
	v_and_b32_e32 v4, 0x7fffffff, v5
	s_brev_b32 s0, 18
	v_cmp_nlt_f32_e64 s[6:7], |v5|, s0
	v_lshrrev_b32_e32 v9, 23, v4
                                        ; implicit-def: $vgpr8
                                        ; implicit-def: $vgpr7
	s_and_saveexec_b64 s[0:1], s[6:7]
	s_xor_b64 s[12:13], exec, s[0:1]
	s_cbranch_execz .LBB15_12
; %bb.11:
	v_and_b32_e32 v7, 0x7fffff, v4
	v_or_b32_e32 v18, 0x800000, v7
	s_mov_b32 s0, 0xfe5163ab
	v_mad_u64_u32 v[7:8], s[0:1], v18, s0, 0
	v_mov_b32_e32 v11, 0
	s_mov_b32 s0, 0x3c439041
	v_mov_b32_e32 v10, v8
	v_mad_u64_u32 v[12:13], s[0:1], v18, s0, v[10:11]
	s_mov_b32 s0, 0xdb629599
	v_add_u32_e32 v8, 0xffffff88, v9
	v_mov_b32_e32 v10, v13
	v_mad_u64_u32 v[13:14], s[0:1], v18, s0, v[10:11]
	s_mov_b32 s0, 0xf534ddc0
	v_not_b32_e32 v17, 63
	v_mov_b32_e32 v10, v14
	v_mad_u64_u32 v[14:15], s[0:1], v18, s0, v[10:11]
	s_mov_b32 s0, 0xfc2757d1
	v_cmp_lt_u32_e32 vcc, 63, v8
	v_mov_b32_e32 v10, v15
	v_mad_u64_u32 v[15:16], s[0:1], v18, s0, v[10:11]
	v_cndmask_b32_e32 v10, 0, v17, vcc
	v_add_u32_e32 v8, v10, v8
	v_mov_b32_e32 v10, v16
	s_mov_b32 s0, 0x4e441529
	v_mad_u64_u32 v[16:17], s[0:1], v18, s0, v[10:11]
	v_not_b32_e32 v19, 31
	v_cmp_lt_u32_e64 s[0:1], 31, v8
	v_cndmask_b32_e64 v10, 0, v19, s[0:1]
	v_add_u32_e32 v8, v10, v8
	v_mov_b32_e32 v10, v17
	s_mov_b32 s2, 0xa2f9836e
	v_mad_u64_u32 v[10:11], s[2:3], v18, s2, v[10:11]
	v_cmp_lt_u32_e64 s[2:3], 31, v8
	v_cndmask_b32_e64 v17, 0, v19, s[2:3]
	v_add_u32_e32 v8, v17, v8
	v_cndmask_b32_e32 v17, v16, v14, vcc
	v_cndmask_b32_e32 v10, v10, v15, vcc
	;; [unrolled: 1-line block ×3, first 2 shown]
	v_cndmask_b32_e64 v18, v10, v17, s[0:1]
	v_cndmask_b32_e64 v10, v11, v10, s[0:1]
	v_cndmask_b32_e32 v11, v15, v13, vcc
	v_cndmask_b32_e64 v15, v17, v11, s[0:1]
	v_cndmask_b32_e64 v10, v10, v18, s[2:3]
	;; [unrolled: 1-line block ×3, first 2 shown]
	v_sub_u32_e32 v17, 32, v8
	v_alignbit_b32 v18, v10, v16, v17
	v_cmp_eq_u32_e64 s[4:5], 0, v8
	v_cndmask_b32_e64 v8, v18, v10, s[4:5]
	v_cndmask_b32_e32 v10, v14, v12, vcc
	v_cndmask_b32_e64 v11, v11, v10, s[0:1]
	v_cndmask_b32_e64 v12, v15, v11, s[2:3]
	v_alignbit_b32 v14, v16, v12, v17
	v_cndmask_b32_e32 v7, v13, v7, vcc
	v_cndmask_b32_e64 v14, v14, v16, s[4:5]
	v_bfe_u32 v18, v8, 29, 1
	v_cndmask_b32_e64 v7, v10, v7, s[0:1]
	v_alignbit_b32 v15, v8, v14, 30
	v_sub_u32_e32 v19, 0, v18
	v_cndmask_b32_e64 v7, v11, v7, s[2:3]
	v_xor_b32_e32 v15, v15, v19
	v_alignbit_b32 v10, v12, v7, v17
	v_cndmask_b32_e64 v10, v10, v12, s[4:5]
	v_ffbh_u32_e32 v12, v15
	v_alignbit_b32 v11, v14, v10, 30
	v_min_u32_e32 v12, 32, v12
	v_alignbit_b32 v7, v10, v7, 30
	v_xor_b32_e32 v11, v11, v19
	v_sub_u32_e32 v13, 31, v12
	v_xor_b32_e32 v7, v7, v19
	v_alignbit_b32 v14, v15, v11, v13
	v_alignbit_b32 v7, v11, v7, v13
	;; [unrolled: 1-line block ×3, first 2 shown]
	v_ffbh_u32_e32 v11, v10
	v_min_u32_e32 v11, 32, v11
	v_lshrrev_b32_e32 v16, 29, v8
	v_not_b32_e32 v13, v11
	v_alignbit_b32 v7, v10, v7, v13
	v_lshlrev_b32_e32 v10, 31, v16
	v_or_b32_e32 v13, 0x33000000, v10
	v_add_lshl_u32 v11, v11, v12, 23
	v_lshrrev_b32_e32 v7, 9, v7
	v_sub_u32_e32 v11, v13, v11
	v_or_b32_e32 v10, 0.5, v10
	v_lshlrev_b32_e32 v12, 23, v12
	v_or_b32_e32 v7, v11, v7
	v_lshrrev_b32_e32 v11, 9, v14
	v_sub_u32_e32 v10, v10, v12
	v_or_b32_e32 v10, v11, v10
	s_mov_b32 s0, 0x3fc90fda
	v_mul_f32_e32 v11, 0x3fc90fda, v10
	v_fma_f32 v12, v10, s0, -v11
	v_fmac_f32_e32 v12, 0x33a22168, v10
	v_fmac_f32_e32 v12, 0x3fc90fda, v7
	v_lshrrev_b32_e32 v8, 30, v8
	v_add_f32_e32 v7, v11, v12
	v_add_u32_e32 v8, v18, v8
	s_andn2_saveexec_b64 s[0:1], s[12:13]
	s_cbranch_execz .LBB15_14
	s_branch .LBB15_13
.LBB15_12:
	s_andn2_saveexec_b64 s[0:1], s[12:13]
	s_cbranch_execz .LBB15_14
.LBB15_13:
	s_mov_b32 s2, 0x3f22f983
	v_mul_f32_e64 v7, |v5|, s2
	v_rndne_f32_e32 v10, v7
	s_mov_b32 s2, 0xbfc90fda
	v_cvt_i32_f32_e32 v8, v10
	v_fma_f32 v7, v10, s2, |v5|
	v_fmac_f32_e32 v7, 0xb3a22168, v10
	v_fmac_f32_e32 v7, 0xa7c234c4, v10
.LBB15_14:
	s_or_b64 exec, exec, s[0:1]
                                        ; implicit-def: $vgpr11
                                        ; implicit-def: $vgpr10
	s_and_saveexec_b64 s[0:1], s[6:7]
	s_xor_b64 s[6:7], exec, s[0:1]
	s_cbranch_execz .LBB15_16
; %bb.15:
	v_and_b32_e32 v10, 0x7fffff, v4
	v_or_b32_e32 v19, 0x800000, v10
	s_mov_b32 s0, 0xfe5163ab
	v_mad_u64_u32 v[10:11], s[0:1], v19, s0, 0
	v_mov_b32_e32 v12, 0
	s_mov_b32 s0, 0x3c439041
	v_mad_u64_u32 v[13:14], s[0:1], v19, s0, v[11:12]
	s_mov_b32 s0, 0xdb629599
	v_add_u32_e32 v9, 0xffffff88, v9
	v_mov_b32_e32 v11, v14
	v_mad_u64_u32 v[14:15], s[0:1], v19, s0, v[11:12]
	s_mov_b32 s0, 0xf534ddc0
	v_not_b32_e32 v18, 63
	v_mov_b32_e32 v11, v15
	v_mad_u64_u32 v[15:16], s[0:1], v19, s0, v[11:12]
	s_mov_b32 s0, 0xfc2757d1
	v_cmp_lt_u32_e32 vcc, 63, v9
	v_mov_b32_e32 v11, v16
	v_mad_u64_u32 v[16:17], s[0:1], v19, s0, v[11:12]
	v_cndmask_b32_e32 v11, 0, v18, vcc
	v_add_u32_e32 v9, v11, v9
	v_mov_b32_e32 v11, v17
	s_mov_b32 s0, 0x4e441529
	v_mad_u64_u32 v[17:18], s[0:1], v19, s0, v[11:12]
	v_not_b32_e32 v20, 31
	v_cmp_lt_u32_e64 s[0:1], 31, v9
	v_cndmask_b32_e64 v11, 0, v20, s[0:1]
	v_add_u32_e32 v9, v11, v9
	v_mov_b32_e32 v11, v18
	s_mov_b32 s2, 0xa2f9836e
	v_mad_u64_u32 v[11:12], s[2:3], v19, s2, v[11:12]
	v_cmp_lt_u32_e64 s[2:3], 31, v9
	v_cndmask_b32_e64 v18, 0, v20, s[2:3]
	v_add_u32_e32 v9, v18, v9
	v_cndmask_b32_e32 v18, v17, v15, vcc
	v_cndmask_b32_e32 v11, v11, v16, vcc
	v_cndmask_b32_e32 v12, v12, v17, vcc
	v_cndmask_b32_e64 v19, v11, v18, s[0:1]
	v_cndmask_b32_e64 v11, v12, v11, s[0:1]
	v_cndmask_b32_e32 v12, v16, v14, vcc
	v_cndmask_b32_e64 v16, v18, v12, s[0:1]
	v_cndmask_b32_e64 v11, v11, v19, s[2:3]
	;; [unrolled: 1-line block ×3, first 2 shown]
	v_sub_u32_e32 v18, 32, v9
	v_alignbit_b32 v19, v11, v17, v18
	v_cmp_eq_u32_e64 s[4:5], 0, v9
	v_cndmask_b32_e64 v9, v19, v11, s[4:5]
	v_cndmask_b32_e32 v11, v15, v13, vcc
	v_cndmask_b32_e64 v12, v12, v11, s[0:1]
	v_cndmask_b32_e64 v13, v16, v12, s[2:3]
	v_alignbit_b32 v15, v17, v13, v18
	v_cndmask_b32_e32 v10, v14, v10, vcc
	v_cndmask_b32_e64 v15, v15, v17, s[4:5]
	v_bfe_u32 v19, v9, 29, 1
	v_cndmask_b32_e64 v10, v11, v10, s[0:1]
	v_alignbit_b32 v16, v9, v15, 30
	v_sub_u32_e32 v20, 0, v19
	v_cndmask_b32_e64 v10, v12, v10, s[2:3]
	v_xor_b32_e32 v16, v16, v20
	v_alignbit_b32 v11, v13, v10, v18
	v_cndmask_b32_e64 v11, v11, v13, s[4:5]
	v_ffbh_u32_e32 v13, v16
	v_alignbit_b32 v12, v15, v11, 30
	v_min_u32_e32 v13, 32, v13
	v_alignbit_b32 v10, v11, v10, 30
	v_xor_b32_e32 v12, v12, v20
	v_sub_u32_e32 v14, 31, v13
	v_xor_b32_e32 v10, v10, v20
	v_alignbit_b32 v15, v16, v12, v14
	v_alignbit_b32 v10, v12, v10, v14
	;; [unrolled: 1-line block ×3, first 2 shown]
	v_ffbh_u32_e32 v12, v11
	v_min_u32_e32 v12, 32, v12
	v_lshrrev_b32_e32 v17, 29, v9
	v_not_b32_e32 v14, v12
	v_alignbit_b32 v10, v11, v10, v14
	v_lshlrev_b32_e32 v11, 31, v17
	v_or_b32_e32 v14, 0x33000000, v11
	v_add_lshl_u32 v12, v12, v13, 23
	v_lshrrev_b32_e32 v10, 9, v10
	v_sub_u32_e32 v12, v14, v12
	v_or_b32_e32 v11, 0.5, v11
	v_lshlrev_b32_e32 v13, 23, v13
	v_or_b32_e32 v10, v12, v10
	v_lshrrev_b32_e32 v12, 9, v15
	v_sub_u32_e32 v11, v11, v13
	v_or_b32_e32 v11, v12, v11
	s_mov_b32 s0, 0x3fc90fda
	v_mul_f32_e32 v12, 0x3fc90fda, v11
	v_fma_f32 v13, v11, s0, -v12
	v_fmac_f32_e32 v13, 0x33a22168, v11
	v_fmac_f32_e32 v13, 0x3fc90fda, v10
	v_lshrrev_b32_e32 v9, 30, v9
	v_add_f32_e32 v10, v12, v13
	v_add_u32_e32 v11, v19, v9
	s_andn2_saveexec_b64 s[0:1], s[6:7]
	s_cbranch_execnz .LBB15_17
	s_branch .LBB15_18
.LBB15_16:
	s_andn2_saveexec_b64 s[0:1], s[6:7]
	s_cbranch_execz .LBB15_18
.LBB15_17:
	s_mov_b32 s2, 0x3f22f983
	v_mul_f32_e64 v9, |v5|, s2
	v_rndne_f32_e32 v9, v9
	s_mov_b32 s2, 0xbfc90fda
	v_cvt_i32_f32_e32 v11, v9
	v_fma_f32 v10, v9, s2, |v5|
	v_fmac_f32_e32 v10, 0xb3a22168, v9
	v_fmac_f32_e32 v10, 0xa7c234c4, v9
.LBB15_18:
	s_or_b64 exec, exec, s[0:1]
	v_lshlrev_b64 v[2:3], 2, v[2:3]
	v_mov_b32_e32 v9, s9
	v_add_co_u32_e32 v2, vcc, s8, v2
	v_addc_co_u32_e32 v3, vcc, v9, v3, vcc
	global_load_dwordx2 v[2:3], v[2:3], off
	v_mul_f32_e32 v9, v7, v7
	v_mov_b32_e32 v13, 0x3c0881c4
	v_mov_b32_e32 v16, 0xbab64f3b
	v_mov_b32_e32 v12, 0x3c0881c4
	v_mov_b32_e32 v14, 0xbe2aaa9d
	v_mov_b32_e32 v15, 0xbab64f3b
	v_mov_b32_e32 v17, 0x3d2aabf7
	v_mul_f32_e32 v19, v10, v10
	v_fmac_f32_e32 v13, 0xb94c1982, v9
	v_fmac_f32_e32 v16, 0x37d75334, v9
	v_mov_b32_e32 v18, 0xbf000004
	v_fmac_f32_e32 v12, 0xb94c1982, v19
	v_fma_f32 v13, v9, v13, v14
	v_fmac_f32_e32 v15, 0x37d75334, v19
	v_fma_f32 v16, v9, v16, v17
	v_fmac_f32_e32 v14, v19, v12
	v_and_b32_e32 v12, 1, v8
	v_fmac_f32_e32 v17, v19, v15
	v_fma_f32 v16, v9, v16, v18
	v_mul_f32_e32 v13, v9, v13
	v_lshlrev_b32_e32 v15, 30, v11
	v_and_b32_e32 v11, 1, v11
	v_fmac_f32_e32 v18, v19, v17
	v_mul_f32_e32 v14, v19, v14
	v_fmac_f32_e32 v7, v7, v13
	v_fma_f32 v9, v9, v16, 1.0
	v_cmp_eq_u32_e32 vcc, 0, v12
	v_xor_b32_e32 v4, v4, v5
	v_and_b32_e32 v15, 0x80000000, v15
	v_fmac_f32_e32 v10, v10, v14
	v_fma_f32 v13, v19, v18, 1.0
	v_cndmask_b32_e64 v7, -v7, v9, vcc
	v_cmp_eq_u32_e32 vcc, 0, v11
	v_lshlrev_b32_e32 v8, 30, v8
	s_movk_i32 s0, 0x1f8
	v_xor_b32_e32 v4, v4, v15
	v_cndmask_b32_e32 v9, v13, v10, vcc
	v_mov_b32_e32 v15, 0x7fc00000
	v_and_b32_e32 v8, 0x80000000, v8
	v_xor_b32_e32 v4, v4, v9
	v_cmp_class_f32_e64 vcc, v5, s0
	v_lshlrev_b64 v[0:1], 2, v[0:1]
	v_xor_b32_e32 v7, v8, v7
	v_cndmask_b32_e32 v4, v15, v4, vcc
	v_cndmask_b32_e32 v5, v15, v7, vcc
	v_mul_f32_e32 v4, v6, v4
	v_mov_b32_e32 v17, s11
	v_mul_f32_e32 v7, v6, v5
	v_add_co_u32_e32 v0, vcc, s10, v0
	v_addc_co_u32_e32 v1, vcc, v17, v1, vcc
	s_waitcnt vmcnt(0)
	v_mul_f32_e32 v6, v3, v4
	v_mul_f32_e32 v5, v2, v4
	v_fma_f32 v4, v7, v2, -v6
	v_fmac_f32_e32 v5, v7, v3
	global_store_dwordx2 v[0:1], v[4:5], off
.LBB15_19:
	s_endpgm
	.section	.rodata,"a",@progbits
	.p2align	6, 0x0
	.amdhsa_kernel _ZL9rope_normILb1ELb1EffEvPKT1_PT2_iiiiiiiiiiPKifff14rope_corr_dimsfPKfPKli
		.amdhsa_group_segment_fixed_size 0
		.amdhsa_private_segment_fixed_size 0
		.amdhsa_kernarg_size 368
		.amdhsa_user_sgpr_count 6
		.amdhsa_user_sgpr_private_segment_buffer 1
		.amdhsa_user_sgpr_dispatch_ptr 0
		.amdhsa_user_sgpr_queue_ptr 0
		.amdhsa_user_sgpr_kernarg_segment_ptr 1
		.amdhsa_user_sgpr_dispatch_id 0
		.amdhsa_user_sgpr_flat_scratch_init 0
		.amdhsa_user_sgpr_private_segment_size 0
		.amdhsa_uses_dynamic_stack 0
		.amdhsa_system_sgpr_private_segment_wavefront_offset 0
		.amdhsa_system_sgpr_workgroup_id_x 1
		.amdhsa_system_sgpr_workgroup_id_y 1
		.amdhsa_system_sgpr_workgroup_id_z 0
		.amdhsa_system_sgpr_workgroup_info 0
		.amdhsa_system_vgpr_workitem_id 1
		.amdhsa_next_free_vgpr 21
		.amdhsa_next_free_sgpr 16
		.amdhsa_reserve_vcc 1
		.amdhsa_reserve_flat_scratch 0
		.amdhsa_float_round_mode_32 0
		.amdhsa_float_round_mode_16_64 0
		.amdhsa_float_denorm_mode_32 3
		.amdhsa_float_denorm_mode_16_64 3
		.amdhsa_dx10_clamp 1
		.amdhsa_ieee_mode 1
		.amdhsa_fp16_overflow 0
		.amdhsa_exception_fp_ieee_invalid_op 0
		.amdhsa_exception_fp_denorm_src 0
		.amdhsa_exception_fp_ieee_div_zero 0
		.amdhsa_exception_fp_ieee_overflow 0
		.amdhsa_exception_fp_ieee_underflow 0
		.amdhsa_exception_fp_ieee_inexact 0
		.amdhsa_exception_int_div_zero 0
	.end_amdhsa_kernel
	.section	.text._ZL9rope_normILb1ELb1EffEvPKT1_PT2_iiiiiiiiiiPKifff14rope_corr_dimsfPKfPKli,"axG",@progbits,_ZL9rope_normILb1ELb1EffEvPKT1_PT2_iiiiiiiiiiPKifff14rope_corr_dimsfPKfPKli,comdat
.Lfunc_end15:
	.size	_ZL9rope_normILb1ELb1EffEvPKT1_PT2_iiiiiiiiiiPKifff14rope_corr_dimsfPKfPKli, .Lfunc_end15-_ZL9rope_normILb1ELb1EffEvPKT1_PT2_iiiiiiiiiiPKifff14rope_corr_dimsfPKfPKli
                                        ; -- End function
	.set _ZL9rope_normILb1ELb1EffEvPKT1_PT2_iiiiiiiiiiPKifff14rope_corr_dimsfPKfPKli.num_vgpr, 21
	.set _ZL9rope_normILb1ELb1EffEvPKT1_PT2_iiiiiiiiiiPKifff14rope_corr_dimsfPKfPKli.num_agpr, 0
	.set _ZL9rope_normILb1ELb1EffEvPKT1_PT2_iiiiiiiiiiPKifff14rope_corr_dimsfPKfPKli.numbered_sgpr, 16
	.set _ZL9rope_normILb1ELb1EffEvPKT1_PT2_iiiiiiiiiiPKifff14rope_corr_dimsfPKfPKli.num_named_barrier, 0
	.set _ZL9rope_normILb1ELb1EffEvPKT1_PT2_iiiiiiiiiiPKifff14rope_corr_dimsfPKfPKli.private_seg_size, 0
	.set _ZL9rope_normILb1ELb1EffEvPKT1_PT2_iiiiiiiiiiPKifff14rope_corr_dimsfPKfPKli.uses_vcc, 1
	.set _ZL9rope_normILb1ELb1EffEvPKT1_PT2_iiiiiiiiiiPKifff14rope_corr_dimsfPKfPKli.uses_flat_scratch, 0
	.set _ZL9rope_normILb1ELb1EffEvPKT1_PT2_iiiiiiiiiiPKifff14rope_corr_dimsfPKfPKli.has_dyn_sized_stack, 0
	.set _ZL9rope_normILb1ELb1EffEvPKT1_PT2_iiiiiiiiiiPKifff14rope_corr_dimsfPKfPKli.has_recursion, 0
	.set _ZL9rope_normILb1ELb1EffEvPKT1_PT2_iiiiiiiiiiPKifff14rope_corr_dimsfPKfPKli.has_indirect_call, 0
	.section	.AMDGPU.csdata,"",@progbits
; Kernel info:
; codeLenInByte = 3796
; TotalNumSgprs: 20
; NumVgprs: 21
; ScratchSize: 0
; MemoryBound: 0
; FloatMode: 240
; IeeeMode: 1
; LDSByteSize: 0 bytes/workgroup (compile time only)
; SGPRBlocks: 2
; VGPRBlocks: 5
; NumSGPRsForWavesPerEU: 20
; NumVGPRsForWavesPerEU: 21
; Occupancy: 10
; WaveLimiterHint : 0
; COMPUTE_PGM_RSRC2:SCRATCH_EN: 0
; COMPUTE_PGM_RSRC2:USER_SGPR: 6
; COMPUTE_PGM_RSRC2:TRAP_HANDLER: 0
; COMPUTE_PGM_RSRC2:TGID_X_EN: 1
; COMPUTE_PGM_RSRC2:TGID_Y_EN: 1
; COMPUTE_PGM_RSRC2:TGID_Z_EN: 0
; COMPUTE_PGM_RSRC2:TIDIG_COMP_CNT: 1
	.section	.text._ZL9rope_normILb1ELb0Ef6__halfEvPKT1_PT2_iiiiiiiiiiPKifff14rope_corr_dimsfPKfPKli,"axG",@progbits,_ZL9rope_normILb1ELb0Ef6__halfEvPKT1_PT2_iiiiiiiiiiPKifff14rope_corr_dimsfPKfPKli,comdat
	.globl	_ZL9rope_normILb1ELb0Ef6__halfEvPKT1_PT2_iiiiiiiiiiPKifff14rope_corr_dimsfPKfPKli ; -- Begin function _ZL9rope_normILb1ELb0Ef6__halfEvPKT1_PT2_iiiiiiiiiiPKifff14rope_corr_dimsfPKfPKli
	.p2align	8
	.type	_ZL9rope_normILb1ELb0Ef6__halfEvPKT1_PT2_iiiiiiiiiiPKifff14rope_corr_dimsfPKfPKli,@function
_ZL9rope_normILb1ELb0Ef6__halfEvPKT1_PT2_iiiiiiiiiiPKifff14rope_corr_dimsfPKfPKli: ; @_ZL9rope_normILb1ELb0Ef6__halfEvPKT1_PT2_iiiiiiiiiiPKifff14rope_corr_dimsfPKfPKli
; %bb.0:
	s_load_dword s2, s[4:5], 0x7c
	s_load_dwordx8 s[8:15], s[4:5], 0x10
	s_add_u32 s0, s4, 0x70
	s_addc_u32 s1, s5, 0
	s_waitcnt lgkmcnt(0)
	s_lshr_b32 s2, s2, 16
	s_mul_i32 s7, s7, s2
	v_add_lshl_u32 v1, s7, v1, 1
	v_cmp_gt_i32_e32 vcc, s8, v1
	s_and_saveexec_b64 s[2:3], vcc
	s_cbranch_execz .LBB16_20
; %bb.1:
	s_mul_i32 s2, s10, s9
	s_abs_i32 s3, s2
	v_cvt_f32_u32_e32 v2, s3
	s_load_dword s0, s[0:1], 0xc
	s_sub_i32 s1, 0, s3
	v_cvt_f32_u32_e32 v3, s9
	v_rcp_iflag_f32_e32 v2, v2
	s_waitcnt lgkmcnt(0)
	s_and_b32 s0, s0, 0xffff
	s_mul_i32 s6, s6, s0
	v_mul_f32_e32 v2, 0x4f7ffffe, v2
	v_cvt_u32_f32_e32 v2, v2
	v_add_u32_e32 v5, s6, v0
	v_sub_u32_e32 v0, 0, v5
	v_max_i32_e32 v0, v5, v0
	v_mul_lo_u32 v4, s1, v2
	v_rcp_iflag_f32_e32 v3, v3
	s_sub_i32 s0, 0, s9
	v_xor_b32_e32 v6, s2, v5
	v_mul_hi_u32 v4, v2, v4
	v_mul_f32_e32 v3, 0x4f7ffffe, v3
	v_cvt_u32_f32_e32 v3, v3
	v_ashrrev_i32_e32 v6, 31, v6
	v_add_u32_e32 v2, v2, v4
	v_mul_hi_u32 v2, v0, v2
	v_mul_lo_u32 v4, s0, v3
	s_load_dwordx2 s[0:1], s[4:5], 0x30
	v_mul_lo_u32 v7, v2, s3
	v_add_u32_e32 v8, 1, v2
	v_mul_hi_u32 v4, v3, v4
	v_sub_u32_e32 v0, v0, v7
	v_cmp_le_u32_e32 vcc, s3, v0
	v_subrev_u32_e32 v7, s3, v0
	v_cndmask_b32_e32 v2, v2, v8, vcc
	v_cndmask_b32_e32 v0, v0, v7, vcc
	v_add_u32_e32 v7, 1, v2
	v_cmp_le_u32_e32 vcc, s3, v0
	v_cndmask_b32_e32 v0, v2, v7, vcc
	v_xor_b32_e32 v0, v0, v6
	v_sub_u32_e32 v0, v0, v6
	v_mul_lo_u32 v2, s2, v0
	v_add_u32_e32 v3, v3, v4
	s_load_dword s2, s[4:5], 0x68
	v_sub_u32_e32 v4, v5, v2
	v_mul_hi_u32 v2, v4, v3
	s_waitcnt lgkmcnt(0)
	s_cmp_eq_u32 s2, 0
	v_mul_lo_u32 v3, v2, s9
	v_add_u32_e32 v5, 1, v2
	v_sub_u32_e32 v3, v4, v3
	v_cmp_le_u32_e32 vcc, s9, v3
	v_cndmask_b32_e32 v2, v2, v5, vcc
	v_subrev_u32_e32 v5, s9, v3
	v_cndmask_b32_e32 v3, v3, v5, vcc
	v_add_u32_e32 v5, 1, v2
	v_cmp_le_u32_e32 vcc, s9, v3
	v_cndmask_b32_e32 v5, v2, v5, vcc
	s_cbranch_scc1 .LBB16_3
; %bb.2:
	s_load_dwordx2 s[6:7], s[4:5], 0x60
	v_mov_b32_e32 v6, 0
	v_lshlrev_b64 v[2:3], 3, v[5:6]
	s_waitcnt lgkmcnt(0)
	v_mov_b32_e32 v6, s7
	v_add_co_u32_e32 v2, vcc, s6, v2
	v_addc_co_u32_e32 v3, vcc, v6, v3, vcc
	global_load_dword v2, v[2:3], off
	s_waitcnt vmcnt(0)
	v_mul_lo_u32 v2, s2, v2
	s_branch .LBB16_4
.LBB16_3:
	v_mul_lo_u32 v2, v0, s0
	v_mad_u64_u32 v[2:3], s[2:3], v5, s15, v[2:3]
.LBB16_4:
	v_mul_lo_u32 v3, v5, s9
	v_mad_u64_u32 v[6:7], s[2:3], v0, s13, v[1:2]
	v_mul_lo_u32 v8, v5, s12
	v_sub_u32_e32 v0, v4, v3
	v_mul_lo_u32 v3, v0, s11
	s_load_dwordx4 s[8:11], s[4:5], 0x0
	v_cmp_le_i32_e32 vcc, s1, v1
	v_add3_u32 v3, v6, v8, v3
	v_ashrrev_i32_e32 v4, 31, v3
                                        ; implicit-def: $vgpr7
	s_and_saveexec_b64 s[0:1], vcc
	s_xor_b64 s[0:1], exec, s[0:1]
	s_cbranch_execz .LBB16_6
; %bb.5:
	v_lshlrev_b64 v[3:4], 2, v[3:4]
	s_waitcnt lgkmcnt(0)
	v_mov_b32_e32 v5, s9
	v_add_co_u32_e32 v3, vcc, s8, v3
	v_addc_co_u32_e32 v4, vcc, v5, v4, vcc
	global_load_dwordx2 v[6:7], v[3:4], off
                                        ; implicit-def: $vgpr3
                                        ; implicit-def: $vgpr5
.LBB16_6:
	s_andn2_saveexec_b64 s[6:7], s[0:1]
	s_cbranch_execz .LBB16_19
; %bb.7:
	s_load_dwordx2 s[0:1], s[4:5], 0x38
	s_waitcnt vmcnt(0)
	v_mov_b32_e32 v6, 0
	v_lshlrev_b64 v[5:6], 2, v[5:6]
	v_mov_b32_e32 v10, 0x3e91f4c4
	v_mov_b32_e32 v11, 0x3ecccdef
	s_waitcnt lgkmcnt(0)
	v_mov_b32_e32 v7, s1
	v_add_co_u32_e32 v5, vcc, s0, v5
	v_addc_co_u32_e32 v6, vcc, v7, v6, vcc
	global_load_dword v7, v[5:6], off
	s_load_dwordx4 s[16:19], s[4:5], 0x40
	s_load_dwordx2 s[12:13], s[4:5], 0x50
	v_cvt_f32_i32_e32 v5, v1
	s_mov_b32 s0, 0x3f2aaaab
	s_mov_b32 s1, 0x3f317218
	s_movk_i32 s5, 0x204
	v_mul_f32_e32 v5, 0.5, v5
	s_waitcnt lgkmcnt(0)
	v_cmp_neq_f32_e64 vcc, s13, 1.0
	v_cndmask_b32_e32 v6, 1.0, v5, vcc
	v_mov_b32_e32 v5, s13
	v_cmp_neq_f32_e32 vcc, 0, v6
	v_cndmask_b32_e32 v5, 1.0, v5, vcc
	v_frexp_mant_f32_e64 v12, |v5|
	v_cmp_gt_f32_e32 vcc, s0, v12
	v_cndmask_b32_e64 v13, 1.0, 2.0, vcc
	v_mul_f32_e32 v12, v12, v13
	v_add_f32_e32 v14, 1.0, v12
	v_cvt_f64_f32_e64 v[8:9], |v5|
	v_rcp_f32_e32 v15, v14
	v_add_f32_e32 v13, -1.0, v12
	v_add_f32_e32 v16, -1.0, v14
	v_frexp_exp_i32_f64_e32 v8, v[8:9]
	v_sub_f32_e32 v9, v12, v16
	v_mul_f32_e32 v12, v13, v15
	v_mul_f32_e32 v16, v14, v12
	v_fma_f32 v14, v12, v14, -v16
	v_fmac_f32_e32 v14, v12, v9
	v_add_f32_e32 v9, v16, v14
	v_sub_f32_e32 v17, v13, v9
	v_sub_f32_e32 v16, v9, v16
	;; [unrolled: 1-line block ×5, first 2 shown]
	v_add_f32_e32 v9, v14, v9
	v_add_f32_e32 v9, v17, v9
	v_mul_f32_e32 v9, v15, v9
	v_add_f32_e32 v14, v12, v9
	v_sub_f32_e32 v12, v14, v12
	v_mul_f32_e32 v15, v14, v14
	v_sub_f32_e32 v9, v9, v12
	v_fma_f32 v12, v14, v14, -v15
	v_add_f32_e32 v16, v9, v9
	v_fmac_f32_e32 v12, v14, v16
	v_add_f32_e32 v16, v15, v12
	v_fmac_f32_e32 v10, 0x3e76c4e1, v16
	v_sub_f32_e32 v15, v16, v15
	v_mul_f32_e32 v17, v14, v16
	v_fmac_f32_e32 v11, v16, v10
	v_sub_f32_e32 v10, v12, v15
	v_fma_f32 v12, v16, v14, -v17
	v_fmac_f32_e32 v12, v16, v9
	v_mul_f32_e32 v15, v16, v11
	v_fmac_f32_e32 v12, v10, v14
	v_fma_f32 v16, v16, v11, -v15
	v_add_f32_e32 v18, v17, v12
	v_fmac_f32_e32 v16, v10, v11
	v_sub_f32_e32 v10, v18, v17
	v_add_f32_e32 v11, v15, v16
	v_sub_f32_e32 v10, v12, v10
	v_add_f32_e32 v12, 0x3f2aaaaa, v11
	v_sub_f32_e32 v15, v11, v15
	v_sub_f32_e32 v15, v16, v15
	v_add_f32_e32 v16, 0xbf2aaaaa, v12
	v_subbrev_co_u32_e32 v8, vcc, 0, v8, vcc
	v_add_f32_e32 v15, 0x31739010, v15
	v_sub_f32_e32 v11, v11, v16
	v_cvt_f32_i32_e32 v8, v8
	v_add_f32_e32 v11, v15, v11
	v_add_f32_e32 v15, v12, v11
	v_sub_f32_e32 v12, v12, v15
	v_mul_f32_e32 v16, v18, v15
	v_add_f32_e32 v11, v11, v12
	v_fma_f32 v12, v18, v15, -v16
	v_mul_f32_e32 v13, 0x3f317218, v8
	v_fmac_f32_e32 v12, v18, v11
	v_fmac_f32_e32 v12, v10, v15
	v_fma_f32 v10, v8, s1, -v13
	v_fmac_f32_e32 v10, 0xb102e308, v8
	v_add_f32_e32 v11, v13, v10
	v_sub_f32_e32 v13, v11, v13
	v_sub_f32_e32 v10, v10, v13
	v_add_f32_e32 v13, v16, v12
	v_ldexp_f32 v8, v9, 1
	v_ldexp_f32 v9, v14, 1
	v_sub_f32_e32 v14, v13, v16
	v_sub_f32_e32 v12, v12, v14
	v_add_f32_e32 v14, v9, v13
	v_sub_f32_e32 v9, v14, v9
	v_sub_f32_e32 v9, v13, v9
	v_add_f32_e32 v8, v8, v12
	v_add_f32_e32 v8, v8, v9
	;; [unrolled: 1-line block ×3, first 2 shown]
	v_sub_f32_e32 v12, v9, v14
	v_sub_f32_e32 v8, v8, v12
	v_add_f32_e32 v12, v11, v9
	v_sub_f32_e32 v13, v12, v11
	v_sub_f32_e32 v14, v12, v13
	;; [unrolled: 1-line block ×4, first 2 shown]
	v_add_f32_e32 v9, v9, v11
	v_add_f32_e32 v11, v10, v8
	v_sub_f32_e32 v13, v11, v10
	v_sub_f32_e32 v14, v11, v13
	;; [unrolled: 1-line block ×4, first 2 shown]
	v_add_f32_e32 v9, v11, v9
	v_add_f32_e32 v8, v8, v10
	;; [unrolled: 1-line block ×3, first 2 shown]
	v_sub_f32_e32 v11, v10, v12
	v_sub_f32_e32 v9, v9, v11
	v_add_f32_e32 v8, v8, v9
	v_add_f32_e32 v9, v10, v8
	v_sub_f32_e32 v10, v9, v10
	v_sub_f32_e32 v8, v8, v10
	v_mul_f32_e32 v10, v6, v9
	v_fma_f32 v9, v6, v9, -v10
	v_fmac_f32_e32 v9, v6, v8
	v_add_f32_e32 v8, v10, v9
	v_cmp_class_f32_e64 vcc, v10, s5
	v_sub_f32_e32 v11, v8, v10
	v_cndmask_b32_e32 v8, v8, v10, vcc
	s_mov_b32 s0, 0x42b17218
	v_mov_b32_e32 v10, 0x37000000
	v_cmp_eq_f32_e32 vcc, s0, v8
	v_cndmask_b32_e32 v10, 0, v10, vcc
	v_sub_f32_e32 v9, v9, v11
	v_sub_f32_e32 v11, v8, v10
	s_mov_b32 s1, 0x3fb8aa3b
	v_mul_f32_e32 v12, 0x3fb8aa3b, v11
	v_fma_f32 v13, v11, s1, -v12
	v_rndne_f32_e32 v14, v12
	v_fmac_f32_e32 v13, 0x32a5705f, v11
	v_sub_f32_e32 v12, v12, v14
	v_add_f32_e32 v12, v12, v13
	v_exp_f32_e32 v12, v12
	v_cvt_i32_f32_e32 v13, v14
	s_mov_b32 s4, 0x7f800000
	v_cmp_neq_f32_e64 vcc, |v8|, s4
	s_mov_b32 s1, 0xc2ce8ed0
	v_cndmask_b32_e32 v8, 0, v9, vcc
	v_ldexp_f32 v9, v12, v13
	v_cmp_ngt_f32_e32 vcc, s1, v11
	v_add_f32_e32 v8, v10, v8
	v_cndmask_b32_e32 v9, 0, v9, vcc
	v_mov_b32_e32 v10, 0x7f800000
	v_cmp_nlt_f32_e32 vcc, s0, v11
	v_cndmask_b32_e32 v9, v10, v9, vcc
	v_fma_f32 v8, v9, v8, v9
	v_cmp_class_f32_e64 vcc, v9, s5
	v_cndmask_b32_e32 v8, v8, v9, vcc
	v_trunc_f32_e32 v9, v6
	v_cmp_eq_f32_e32 vcc, v9, v6
	v_mul_f32_e32 v9, 0.5, v6
	v_trunc_f32_e32 v12, v9
	v_cmp_neq_f32_e64 s[0:1], v12, v9
	s_and_b64 s[0:1], vcc, s[0:1]
	v_cndmask_b32_e64 v9, 1.0, v5, s[0:1]
	s_brev_b32 s13, -2
	v_mov_b32_e32 v11, 0x7fc00000
	v_bfi_b32 v8, s13, v8, v9
	v_cmp_neq_f32_e64 s[2:3], v6, |v6|
	v_cmp_lt_f32_e64 s[20:21], |v5|, 1.0
	v_cndmask_b32_e32 v9, v11, v8, vcc
	v_cmp_gt_f32_e32 vcc, 0, v5
	s_xor_b64 s[2:3], s[2:3], s[20:21]
	v_cndmask_b32_e32 v8, v8, v9, vcc
	v_cndmask_b32_e64 v9, v10, 0, s[2:3]
	v_cmp_neq_f32_e64 vcc, |v5|, 1.0
	v_cndmask_b32_e32 v9, 1.0, v9, vcc
	v_cmp_class_f32_e64 vcc, v6, s5
	v_cndmask_b32_e32 v8, v8, v9, vcc
	v_cmp_eq_f32_e32 vcc, 0, v5
	v_cmp_gt_f32_e64 s[2:3], 0, v6
	s_xor_b64 s[2:3], s[2:3], vcc
	s_waitcnt vmcnt(0)
	v_cvt_f32_i32_e32 v7, v7
	v_cmp_class_f32_e64 s[20:21], v5, s5
	v_cndmask_b32_e64 v6, v10, 0, s[2:3]
	v_cndmask_b32_e64 v9, 0, v5, s[0:1]
	v_bfi_b32 v6, s13, v6, v9
	s_or_b64 vcc, vcc, s[20:21]
	v_cndmask_b32_e32 v6, v8, v6, vcc
	v_cmp_o_f32_e32 vcc, v5, v5
	v_cndmask_b32_e32 v5, v11, v6, vcc
	v_mul_f32_e32 v7, v5, v7
	v_cmp_eq_f32_e64 s[0:1], s17, 0
	v_mul_f32_e32 v5, s16, v7
	s_and_b64 vcc, exec, s[0:1]
	s_cbranch_vccnz .LBB16_9
; %bb.8:
	v_ashrrev_i32_e32 v6, 1, v1
	v_cvt_f32_i32_e32 v6, v6
	v_div_scale_f32 v9, s[0:1], s16, s16, 1.0
	v_mov_b32_e32 v8, s19
	v_sub_f32_e32 v8, s12, v8
	v_subrev_f32_e32 v6, s19, v6
	v_max_f32_e32 v8, 0x3a83126f, v8
	v_div_scale_f32 v10, s[0:1], v8, v8, v6
	v_div_scale_f32 v11, s[0:1], 1.0, s16, 1.0
	v_div_scale_f32 v12, vcc, v6, v8, v6
	s_mov_b32 s2, 0x3f317217
	v_rcp_f32_e32 v13, v9
	v_fma_f32 v14, -v9, v13, 1.0
	v_fmac_f32_e32 v13, v14, v13
	v_rcp_f32_e32 v14, v10
	v_mul_f32_e32 v15, v11, v13
	v_fma_f32 v16, -v9, v15, v11
	v_fmac_f32_e32 v15, v16, v13
	v_fma_f32 v9, -v9, v15, v11
	v_fma_f32 v11, -v10, v14, 1.0
	v_fmac_f32_e32 v14, v11, v14
	v_mul_f32_e32 v11, v12, v14
	v_fma_f32 v16, -v10, v11, v12
	v_fmac_f32_e32 v11, v16, v14
	v_fma_f32 v10, -v10, v11, v12
	v_div_fmas_f32 v10, v10, v14, v11
	s_mov_b64 vcc, s[0:1]
	v_div_fmas_f32 v9, v9, v13, v15
	s_mov_b32 s0, 0x800000
	v_mov_b32_e32 v11, 0x41b17218
	v_div_fixup_f32 v6, v10, v8, v6 clamp
	v_sub_f32_e32 v6, 1.0, v6
	v_div_fixup_f32 v8, v9, s16, 1.0
	v_cmp_gt_f32_e32 vcc, s0, v8
	s_and_b64 s[0:1], vcc, exec
	s_cselect_b32 s0, 32, 0
	v_ldexp_f32 v8, v8, s0
	v_log_f32_e32 v8, v8
	v_mul_f32_e32 v9, s17, v6
	v_fma_f32 v6, -s17, v6, 1.0
	v_mul_f32_e32 v5, v6, v5
	v_mul_f32_e32 v6, 0x3f317217, v8
	v_fma_f32 v6, v8, s2, -v6
	v_fmac_f32_e32 v6, 0x3377d1cf, v8
	v_cndmask_b32_e32 v10, 0, v11, vcc
	v_fmac_f32_e32 v6, 0x3f317217, v8
	v_cmp_lt_f32_e64 vcc, |v8|, s4
	v_cndmask_b32_e32 v6, v8, v6, vcc
	v_sub_f32_e32 v6, v6, v10
	s_mov_b32 s0, 0x3dcccccd
	v_fma_f32 v6, v6, s0, 1.0
	v_fmac_f32_e32 v5, v9, v7
	v_mul_f32_e32 v6, s18, v6
	s_branch .LBB16_10
.LBB16_9:
	v_mov_b32_e32 v6, s18
.LBB16_10:
	v_and_b32_e32 v7, 0x7fffffff, v5
	s_brev_b32 s0, 18
	v_cmp_nlt_f32_e64 s[12:13], |v5|, s0
	v_lshrrev_b32_e32 v10, 23, v7
                                        ; implicit-def: $vgpr9
                                        ; implicit-def: $vgpr8
	s_and_saveexec_b64 s[0:1], s[12:13]
	s_xor_b64 s[16:17], exec, s[0:1]
	s_cbranch_execz .LBB16_12
; %bb.11:
	v_and_b32_e32 v8, 0x7fffff, v7
	v_or_b32_e32 v19, 0x800000, v8
	s_mov_b32 s0, 0xfe5163ab
	v_mad_u64_u32 v[8:9], s[0:1], v19, s0, 0
	v_mov_b32_e32 v12, 0
	s_mov_b32 s0, 0x3c439041
	v_mov_b32_e32 v11, v9
	v_mad_u64_u32 v[13:14], s[0:1], v19, s0, v[11:12]
	s_mov_b32 s0, 0xdb629599
	v_add_u32_e32 v9, 0xffffff88, v10
	v_mov_b32_e32 v11, v14
	v_mad_u64_u32 v[14:15], s[0:1], v19, s0, v[11:12]
	s_mov_b32 s0, 0xf534ddc0
	v_not_b32_e32 v18, 63
	v_mov_b32_e32 v11, v15
	v_mad_u64_u32 v[15:16], s[0:1], v19, s0, v[11:12]
	s_mov_b32 s0, 0xfc2757d1
	v_cmp_lt_u32_e32 vcc, 63, v9
	v_mov_b32_e32 v11, v16
	v_mad_u64_u32 v[16:17], s[0:1], v19, s0, v[11:12]
	v_cndmask_b32_e32 v11, 0, v18, vcc
	v_add_u32_e32 v9, v11, v9
	v_mov_b32_e32 v11, v17
	s_mov_b32 s0, 0x4e441529
	v_mad_u64_u32 v[17:18], s[0:1], v19, s0, v[11:12]
	v_not_b32_e32 v20, 31
	v_cmp_lt_u32_e64 s[0:1], 31, v9
	v_cndmask_b32_e64 v11, 0, v20, s[0:1]
	v_add_u32_e32 v9, v11, v9
	v_mov_b32_e32 v11, v18
	s_mov_b32 s2, 0xa2f9836e
	v_mad_u64_u32 v[11:12], s[2:3], v19, s2, v[11:12]
	v_cmp_lt_u32_e64 s[2:3], 31, v9
	v_cndmask_b32_e64 v18, 0, v20, s[2:3]
	v_add_u32_e32 v9, v18, v9
	v_cndmask_b32_e32 v18, v17, v15, vcc
	v_cndmask_b32_e32 v11, v11, v16, vcc
	;; [unrolled: 1-line block ×3, first 2 shown]
	v_cndmask_b32_e64 v19, v11, v18, s[0:1]
	v_cndmask_b32_e64 v11, v12, v11, s[0:1]
	v_cndmask_b32_e32 v12, v16, v14, vcc
	v_cndmask_b32_e64 v16, v18, v12, s[0:1]
	v_cndmask_b32_e64 v11, v11, v19, s[2:3]
	;; [unrolled: 1-line block ×3, first 2 shown]
	v_sub_u32_e32 v18, 32, v9
	v_alignbit_b32 v19, v11, v17, v18
	v_cmp_eq_u32_e64 s[4:5], 0, v9
	v_cndmask_b32_e64 v9, v19, v11, s[4:5]
	v_cndmask_b32_e32 v11, v15, v13, vcc
	v_cndmask_b32_e64 v12, v12, v11, s[0:1]
	v_cndmask_b32_e64 v13, v16, v12, s[2:3]
	v_alignbit_b32 v15, v17, v13, v18
	v_cndmask_b32_e32 v8, v14, v8, vcc
	v_cndmask_b32_e64 v15, v15, v17, s[4:5]
	v_bfe_u32 v19, v9, 29, 1
	v_cndmask_b32_e64 v8, v11, v8, s[0:1]
	v_alignbit_b32 v16, v9, v15, 30
	v_sub_u32_e32 v20, 0, v19
	v_cndmask_b32_e64 v8, v12, v8, s[2:3]
	v_xor_b32_e32 v16, v16, v20
	v_alignbit_b32 v11, v13, v8, v18
	v_cndmask_b32_e64 v11, v11, v13, s[4:5]
	v_ffbh_u32_e32 v13, v16
	v_alignbit_b32 v12, v15, v11, 30
	v_min_u32_e32 v13, 32, v13
	v_alignbit_b32 v8, v11, v8, 30
	v_xor_b32_e32 v12, v12, v20
	v_sub_u32_e32 v14, 31, v13
	v_xor_b32_e32 v8, v8, v20
	v_alignbit_b32 v15, v16, v12, v14
	v_alignbit_b32 v8, v12, v8, v14
	v_alignbit_b32 v11, v15, v8, 9
	v_ffbh_u32_e32 v12, v11
	v_min_u32_e32 v12, 32, v12
	v_lshrrev_b32_e32 v17, 29, v9
	v_not_b32_e32 v14, v12
	v_alignbit_b32 v8, v11, v8, v14
	v_lshlrev_b32_e32 v11, 31, v17
	v_or_b32_e32 v14, 0x33000000, v11
	v_add_lshl_u32 v12, v12, v13, 23
	v_lshrrev_b32_e32 v8, 9, v8
	v_sub_u32_e32 v12, v14, v12
	v_or_b32_e32 v11, 0.5, v11
	v_lshlrev_b32_e32 v13, 23, v13
	v_or_b32_e32 v8, v12, v8
	v_lshrrev_b32_e32 v12, 9, v15
	v_sub_u32_e32 v11, v11, v13
	v_or_b32_e32 v11, v12, v11
	s_mov_b32 s0, 0x3fc90fda
	v_mul_f32_e32 v12, 0x3fc90fda, v11
	v_fma_f32 v13, v11, s0, -v12
	v_fmac_f32_e32 v13, 0x33a22168, v11
	v_fmac_f32_e32 v13, 0x3fc90fda, v8
	v_lshrrev_b32_e32 v9, 30, v9
	v_add_f32_e32 v8, v12, v13
	v_add_u32_e32 v9, v19, v9
	s_andn2_saveexec_b64 s[0:1], s[16:17]
	s_cbranch_execz .LBB16_14
	s_branch .LBB16_13
.LBB16_12:
	s_andn2_saveexec_b64 s[0:1], s[16:17]
	s_cbranch_execz .LBB16_14
.LBB16_13:
	s_mov_b32 s2, 0x3f22f983
	v_mul_f32_e64 v8, |v5|, s2
	v_rndne_f32_e32 v11, v8
	s_mov_b32 s2, 0xbfc90fda
	v_cvt_i32_f32_e32 v9, v11
	v_fma_f32 v8, v11, s2, |v5|
	v_fmac_f32_e32 v8, 0xb3a22168, v11
	v_fmac_f32_e32 v8, 0xa7c234c4, v11
.LBB16_14:
	s_or_b64 exec, exec, s[0:1]
                                        ; implicit-def: $vgpr12
                                        ; implicit-def: $vgpr11
	s_and_saveexec_b64 s[0:1], s[12:13]
	s_xor_b64 s[12:13], exec, s[0:1]
	s_cbranch_execz .LBB16_16
; %bb.15:
	v_and_b32_e32 v11, 0x7fffff, v7
	v_or_b32_e32 v20, 0x800000, v11
	s_mov_b32 s0, 0xfe5163ab
	v_mad_u64_u32 v[11:12], s[0:1], v20, s0, 0
	v_mov_b32_e32 v13, 0
	s_mov_b32 s0, 0x3c439041
	v_mad_u64_u32 v[14:15], s[0:1], v20, s0, v[12:13]
	s_mov_b32 s0, 0xdb629599
	v_add_u32_e32 v10, 0xffffff88, v10
	v_mov_b32_e32 v12, v15
	v_mad_u64_u32 v[15:16], s[0:1], v20, s0, v[12:13]
	s_mov_b32 s0, 0xf534ddc0
	v_not_b32_e32 v19, 63
	v_mov_b32_e32 v12, v16
	v_mad_u64_u32 v[16:17], s[0:1], v20, s0, v[12:13]
	s_mov_b32 s0, 0xfc2757d1
	v_cmp_lt_u32_e32 vcc, 63, v10
	v_mov_b32_e32 v12, v17
	v_mad_u64_u32 v[17:18], s[0:1], v20, s0, v[12:13]
	v_cndmask_b32_e32 v12, 0, v19, vcc
	v_add_u32_e32 v10, v12, v10
	v_mov_b32_e32 v12, v18
	s_mov_b32 s0, 0x4e441529
	v_mad_u64_u32 v[18:19], s[0:1], v20, s0, v[12:13]
	v_not_b32_e32 v21, 31
	v_cmp_lt_u32_e64 s[0:1], 31, v10
	v_cndmask_b32_e64 v12, 0, v21, s[0:1]
	v_add_u32_e32 v10, v12, v10
	v_mov_b32_e32 v12, v19
	s_mov_b32 s2, 0xa2f9836e
	v_mad_u64_u32 v[12:13], s[2:3], v20, s2, v[12:13]
	v_cmp_lt_u32_e64 s[2:3], 31, v10
	v_cndmask_b32_e64 v19, 0, v21, s[2:3]
	v_add_u32_e32 v10, v19, v10
	v_cndmask_b32_e32 v19, v18, v16, vcc
	v_cndmask_b32_e32 v12, v12, v17, vcc
	;; [unrolled: 1-line block ×3, first 2 shown]
	v_cndmask_b32_e64 v20, v12, v19, s[0:1]
	v_cndmask_b32_e64 v12, v13, v12, s[0:1]
	v_cndmask_b32_e32 v13, v17, v15, vcc
	v_cndmask_b32_e64 v17, v19, v13, s[0:1]
	v_cndmask_b32_e64 v12, v12, v20, s[2:3]
	;; [unrolled: 1-line block ×3, first 2 shown]
	v_sub_u32_e32 v19, 32, v10
	v_alignbit_b32 v20, v12, v18, v19
	v_cmp_eq_u32_e64 s[4:5], 0, v10
	v_cndmask_b32_e64 v10, v20, v12, s[4:5]
	v_cndmask_b32_e32 v12, v16, v14, vcc
	v_cndmask_b32_e64 v13, v13, v12, s[0:1]
	v_cndmask_b32_e64 v14, v17, v13, s[2:3]
	v_alignbit_b32 v16, v18, v14, v19
	v_cndmask_b32_e32 v11, v15, v11, vcc
	v_cndmask_b32_e64 v16, v16, v18, s[4:5]
	v_bfe_u32 v20, v10, 29, 1
	v_cndmask_b32_e64 v11, v12, v11, s[0:1]
	v_alignbit_b32 v17, v10, v16, 30
	v_sub_u32_e32 v21, 0, v20
	v_cndmask_b32_e64 v11, v13, v11, s[2:3]
	v_xor_b32_e32 v17, v17, v21
	v_alignbit_b32 v12, v14, v11, v19
	v_cndmask_b32_e64 v12, v12, v14, s[4:5]
	v_ffbh_u32_e32 v14, v17
	v_alignbit_b32 v13, v16, v12, 30
	v_min_u32_e32 v14, 32, v14
	v_alignbit_b32 v11, v12, v11, 30
	v_xor_b32_e32 v13, v13, v21
	v_sub_u32_e32 v15, 31, v14
	v_xor_b32_e32 v11, v11, v21
	v_alignbit_b32 v16, v17, v13, v15
	v_alignbit_b32 v11, v13, v11, v15
	;; [unrolled: 1-line block ×3, first 2 shown]
	v_ffbh_u32_e32 v13, v12
	v_min_u32_e32 v13, 32, v13
	v_lshrrev_b32_e32 v18, 29, v10
	v_not_b32_e32 v15, v13
	v_alignbit_b32 v11, v12, v11, v15
	v_lshlrev_b32_e32 v12, 31, v18
	v_or_b32_e32 v15, 0x33000000, v12
	v_add_lshl_u32 v13, v13, v14, 23
	v_lshrrev_b32_e32 v11, 9, v11
	v_sub_u32_e32 v13, v15, v13
	v_or_b32_e32 v12, 0.5, v12
	v_lshlrev_b32_e32 v14, 23, v14
	v_or_b32_e32 v11, v13, v11
	v_lshrrev_b32_e32 v13, 9, v16
	v_sub_u32_e32 v12, v12, v14
	v_or_b32_e32 v12, v13, v12
	s_mov_b32 s0, 0x3fc90fda
	v_mul_f32_e32 v13, 0x3fc90fda, v12
	v_fma_f32 v14, v12, s0, -v13
	v_fmac_f32_e32 v14, 0x33a22168, v12
	v_fmac_f32_e32 v14, 0x3fc90fda, v11
	v_lshrrev_b32_e32 v10, 30, v10
	v_add_f32_e32 v11, v13, v14
	v_add_u32_e32 v12, v20, v10
	s_andn2_saveexec_b64 s[0:1], s[12:13]
	s_cbranch_execnz .LBB16_17
	s_branch .LBB16_18
.LBB16_16:
	s_andn2_saveexec_b64 s[0:1], s[12:13]
	s_cbranch_execz .LBB16_18
.LBB16_17:
	s_mov_b32 s2, 0x3f22f983
	v_mul_f32_e64 v10, |v5|, s2
	v_rndne_f32_e32 v10, v10
	s_mov_b32 s2, 0xbfc90fda
	v_cvt_i32_f32_e32 v12, v10
	v_fma_f32 v11, v10, s2, |v5|
	v_fmac_f32_e32 v11, 0xb3a22168, v10
	v_fmac_f32_e32 v11, 0xa7c234c4, v10
.LBB16_18:
	s_or_b64 exec, exec, s[0:1]
	v_lshlrev_b64 v[3:4], 2, v[3:4]
	v_mov_b32_e32 v10, s9
	v_add_co_u32_e32 v3, vcc, s8, v3
	v_addc_co_u32_e32 v4, vcc, v10, v4, vcc
	global_load_dwordx2 v[3:4], v[3:4], off
	v_mul_f32_e32 v10, v8, v8
	v_mov_b32_e32 v13, 0x3c0881c4
	v_mov_b32_e32 v14, 0x3c0881c4
	v_mul_f32_e32 v22, v11, v11
	v_mov_b32_e32 v15, 0xbe2aaa9d
	v_mov_b32_e32 v17, 0xbab64f3b
	v_fmac_f32_e32 v14, 0xb94c1982, v10
	v_fmac_f32_e32 v13, 0xb94c1982, v22
	v_mov_b32_e32 v16, 0xbab64f3b
	v_mov_b32_e32 v18, 0x3d2aabf7
	v_fma_f32 v14, v10, v14, v15
	v_fmac_f32_e32 v15, v22, v13
	v_and_b32_e32 v13, 1, v12
	v_lshlrev_b32_e32 v12, 30, v12
	v_fmac_f32_e32 v17, 0x37d75334, v10
	v_mov_b32_e32 v19, 0xbf000004
	v_xor_b32_e32 v7, v7, v5
	v_fmac_f32_e32 v16, 0x37d75334, v22
	v_and_b32_e32 v12, 0x80000000, v12
	v_fma_f32 v17, v10, v17, v18
	v_and_b32_e32 v20, 1, v9
	v_fmac_f32_e32 v18, v22, v16
	v_xor_b32_e32 v7, v7, v12
	v_mul_f32_e32 v12, v10, v14
	v_fma_f32 v14, v10, v17, v19
	v_mul_f32_e32 v15, v22, v15
	v_fmac_f32_e32 v19, v22, v18
	v_fmac_f32_e32 v8, v8, v12
	v_fma_f32 v10, v10, v14, 1.0
	v_cmp_eq_u32_e32 vcc, 0, v20
	v_lshlrev_b32_e32 v9, 30, v9
	v_fmac_f32_e32 v11, v11, v15
	v_fma_f32 v12, v22, v19, 1.0
	v_cndmask_b32_e64 v8, -v8, v10, vcc
	v_cmp_eq_u32_e32 vcc, 0, v13
	s_movk_i32 s0, 0x1f8
	v_and_b32_e32 v9, 0x80000000, v9
	v_cndmask_b32_e32 v10, v12, v11, vcc
	v_mov_b32_e32 v21, 0x7fc00000
	v_xor_b32_e32 v8, v9, v8
	v_xor_b32_e32 v7, v7, v10
	v_cmp_class_f32_e64 vcc, v5, s0
	v_cndmask_b32_e32 v5, v21, v8, vcc
	v_cndmask_b32_e32 v7, v21, v7, vcc
	v_mul_f32_e32 v5, v6, v5
	v_mul_f32_e32 v6, v6, v7
	s_waitcnt vmcnt(0)
	v_mul_f32_e32 v8, v4, v6
	v_mul_f32_e32 v7, v3, v6
	v_fma_f32 v6, v5, v3, -v8
	v_fmac_f32_e32 v7, v5, v4
.LBB16_19:
	s_or_b64 exec, exec, s[6:7]
	v_mul_lo_u32 v0, v0, s14
	s_waitcnt vmcnt(0)
	v_cvt_f16_f32_e32 v3, v6
	v_cvt_f16_f32_sdwa v4, v7 dst_sel:WORD_1 dst_unused:UNUSED_PAD src0_sel:DWORD
	v_add3_u32 v0, v0, v1, v2
	v_ashrrev_i32_e32 v1, 31, v0
	v_lshlrev_b64 v[0:1], 1, v[0:1]
	v_or_b32_e32 v2, v4, v3
	s_waitcnt lgkmcnt(0)
	v_mov_b32_e32 v3, s11
	v_add_co_u32_e32 v0, vcc, s10, v0
	v_addc_co_u32_e32 v1, vcc, v3, v1, vcc
	global_store_dword v[0:1], v2, off
.LBB16_20:
	s_endpgm
	.section	.rodata,"a",@progbits
	.p2align	6, 0x0
	.amdhsa_kernel _ZL9rope_normILb1ELb0Ef6__halfEvPKT1_PT2_iiiiiiiiiiPKifff14rope_corr_dimsfPKfPKli
		.amdhsa_group_segment_fixed_size 0
		.amdhsa_private_segment_fixed_size 0
		.amdhsa_kernarg_size 368
		.amdhsa_user_sgpr_count 6
		.amdhsa_user_sgpr_private_segment_buffer 1
		.amdhsa_user_sgpr_dispatch_ptr 0
		.amdhsa_user_sgpr_queue_ptr 0
		.amdhsa_user_sgpr_kernarg_segment_ptr 1
		.amdhsa_user_sgpr_dispatch_id 0
		.amdhsa_user_sgpr_flat_scratch_init 0
		.amdhsa_user_sgpr_private_segment_size 0
		.amdhsa_uses_dynamic_stack 0
		.amdhsa_system_sgpr_private_segment_wavefront_offset 0
		.amdhsa_system_sgpr_workgroup_id_x 1
		.amdhsa_system_sgpr_workgroup_id_y 1
		.amdhsa_system_sgpr_workgroup_id_z 0
		.amdhsa_system_sgpr_workgroup_info 0
		.amdhsa_system_vgpr_workitem_id 1
		.amdhsa_next_free_vgpr 23
		.amdhsa_next_free_sgpr 22
		.amdhsa_reserve_vcc 1
		.amdhsa_reserve_flat_scratch 0
		.amdhsa_float_round_mode_32 0
		.amdhsa_float_round_mode_16_64 0
		.amdhsa_float_denorm_mode_32 3
		.amdhsa_float_denorm_mode_16_64 3
		.amdhsa_dx10_clamp 1
		.amdhsa_ieee_mode 1
		.amdhsa_fp16_overflow 0
		.amdhsa_exception_fp_ieee_invalid_op 0
		.amdhsa_exception_fp_denorm_src 0
		.amdhsa_exception_fp_ieee_div_zero 0
		.amdhsa_exception_fp_ieee_overflow 0
		.amdhsa_exception_fp_ieee_underflow 0
		.amdhsa_exception_fp_ieee_inexact 0
		.amdhsa_exception_int_div_zero 0
	.end_amdhsa_kernel
	.section	.text._ZL9rope_normILb1ELb0Ef6__halfEvPKT1_PT2_iiiiiiiiiiPKifff14rope_corr_dimsfPKfPKli,"axG",@progbits,_ZL9rope_normILb1ELb0Ef6__halfEvPKT1_PT2_iiiiiiiiiiPKifff14rope_corr_dimsfPKfPKli,comdat
.Lfunc_end16:
	.size	_ZL9rope_normILb1ELb0Ef6__halfEvPKT1_PT2_iiiiiiiiiiPKifff14rope_corr_dimsfPKfPKli, .Lfunc_end16-_ZL9rope_normILb1ELb0Ef6__halfEvPKT1_PT2_iiiiiiiiiiPKifff14rope_corr_dimsfPKfPKli
                                        ; -- End function
	.set _ZL9rope_normILb1ELb0Ef6__halfEvPKT1_PT2_iiiiiiiiiiPKifff14rope_corr_dimsfPKfPKli.num_vgpr, 23
	.set _ZL9rope_normILb1ELb0Ef6__halfEvPKT1_PT2_iiiiiiiiiiPKifff14rope_corr_dimsfPKfPKli.num_agpr, 0
	.set _ZL9rope_normILb1ELb0Ef6__halfEvPKT1_PT2_iiiiiiiiiiPKifff14rope_corr_dimsfPKfPKli.numbered_sgpr, 22
	.set _ZL9rope_normILb1ELb0Ef6__halfEvPKT1_PT2_iiiiiiiiiiPKifff14rope_corr_dimsfPKfPKli.num_named_barrier, 0
	.set _ZL9rope_normILb1ELb0Ef6__halfEvPKT1_PT2_iiiiiiiiiiPKifff14rope_corr_dimsfPKfPKli.private_seg_size, 0
	.set _ZL9rope_normILb1ELb0Ef6__halfEvPKT1_PT2_iiiiiiiiiiPKifff14rope_corr_dimsfPKfPKli.uses_vcc, 1
	.set _ZL9rope_normILb1ELb0Ef6__halfEvPKT1_PT2_iiiiiiiiiiPKifff14rope_corr_dimsfPKfPKli.uses_flat_scratch, 0
	.set _ZL9rope_normILb1ELb0Ef6__halfEvPKT1_PT2_iiiiiiiiiiPKifff14rope_corr_dimsfPKfPKli.has_dyn_sized_stack, 0
	.set _ZL9rope_normILb1ELb0Ef6__halfEvPKT1_PT2_iiiiiiiiiiPKifff14rope_corr_dimsfPKfPKli.has_recursion, 0
	.set _ZL9rope_normILb1ELb0Ef6__halfEvPKT1_PT2_iiiiiiiiiiPKifff14rope_corr_dimsfPKfPKli.has_indirect_call, 0
	.section	.AMDGPU.csdata,"",@progbits
; Kernel info:
; codeLenInByte = 3688
; TotalNumSgprs: 26
; NumVgprs: 23
; ScratchSize: 0
; MemoryBound: 0
; FloatMode: 240
; IeeeMode: 1
; LDSByteSize: 0 bytes/workgroup (compile time only)
; SGPRBlocks: 3
; VGPRBlocks: 5
; NumSGPRsForWavesPerEU: 26
; NumVGPRsForWavesPerEU: 23
; Occupancy: 10
; WaveLimiterHint : 0
; COMPUTE_PGM_RSRC2:SCRATCH_EN: 0
; COMPUTE_PGM_RSRC2:USER_SGPR: 6
; COMPUTE_PGM_RSRC2:TRAP_HANDLER: 0
; COMPUTE_PGM_RSRC2:TGID_X_EN: 1
; COMPUTE_PGM_RSRC2:TGID_Y_EN: 1
; COMPUTE_PGM_RSRC2:TGID_Z_EN: 0
; COMPUTE_PGM_RSRC2:TIDIG_COMP_CNT: 1
	.section	.text._ZL9rope_normILb1ELb1Ef6__halfEvPKT1_PT2_iiiiiiiiiiPKifff14rope_corr_dimsfPKfPKli,"axG",@progbits,_ZL9rope_normILb1ELb1Ef6__halfEvPKT1_PT2_iiiiiiiiiiPKifff14rope_corr_dimsfPKfPKli,comdat
	.globl	_ZL9rope_normILb1ELb1Ef6__halfEvPKT1_PT2_iiiiiiiiiiPKifff14rope_corr_dimsfPKfPKli ; -- Begin function _ZL9rope_normILb1ELb1Ef6__halfEvPKT1_PT2_iiiiiiiiiiPKifff14rope_corr_dimsfPKfPKli
	.p2align	8
	.type	_ZL9rope_normILb1ELb1Ef6__halfEvPKT1_PT2_iiiiiiiiiiPKifff14rope_corr_dimsfPKfPKli,@function
_ZL9rope_normILb1ELb1Ef6__halfEvPKT1_PT2_iiiiiiiiiiPKifff14rope_corr_dimsfPKfPKli: ; @_ZL9rope_normILb1ELb1Ef6__halfEvPKT1_PT2_iiiiiiiiiiPKifff14rope_corr_dimsfPKfPKli
; %bb.0:
	s_load_dword s2, s[4:5], 0x7c
	s_load_dwordx8 s[8:15], s[4:5], 0x10
	s_add_u32 s0, s4, 0x70
	s_addc_u32 s1, s5, 0
	s_waitcnt lgkmcnt(0)
	s_lshr_b32 s2, s2, 16
	s_mul_i32 s7, s7, s2
	v_add_lshl_u32 v1, s7, v1, 1
	v_cmp_gt_i32_e32 vcc, s8, v1
	s_and_saveexec_b64 s[2:3], vcc
	s_cbranch_execz .LBB17_20
; %bb.1:
	s_mul_i32 s2, s10, s9
	s_abs_i32 s3, s2
	v_cvt_f32_u32_e32 v2, s3
	s_load_dword s0, s[0:1], 0xc
	s_sub_i32 s1, 0, s3
	v_cvt_f32_u32_e32 v3, s9
	v_rcp_iflag_f32_e32 v2, v2
	s_load_dword s8, s[4:5], 0x68
	s_waitcnt lgkmcnt(0)
	s_and_b32 s0, s0, 0xffff
	s_mul_i32 s6, s6, s0
	v_mul_f32_e32 v2, 0x4f7ffffe, v2
	v_cvt_u32_f32_e32 v2, v2
	v_add_u32_e32 v5, s6, v0
	v_sub_u32_e32 v0, 0, v5
	v_max_i32_e32 v0, v5, v0
	v_mul_lo_u32 v4, s1, v2
	v_rcp_iflag_f32_e32 v3, v3
	s_sub_i32 s0, 0, s9
	v_xor_b32_e32 v6, s2, v5
	v_mul_hi_u32 v4, v2, v4
	v_mul_f32_e32 v3, 0x4f7ffffe, v3
	v_cvt_u32_f32_e32 v3, v3
	v_ashrrev_i32_e32 v6, 31, v6
	v_add_u32_e32 v2, v2, v4
	v_mul_hi_u32 v2, v0, v2
	v_mul_lo_u32 v4, s0, v3
	s_cmp_eq_u32 s8, 0
	v_mul_lo_u32 v7, v2, s3
	v_add_u32_e32 v8, 1, v2
	v_mul_hi_u32 v4, v3, v4
	v_sub_u32_e32 v0, v0, v7
	v_cmp_le_u32_e32 vcc, s3, v0
	v_subrev_u32_e32 v7, s3, v0
	v_cndmask_b32_e32 v2, v2, v8, vcc
	v_cndmask_b32_e32 v0, v0, v7, vcc
	v_add_u32_e32 v7, 1, v2
	v_cmp_le_u32_e32 vcc, s3, v0
	v_cndmask_b32_e32 v0, v2, v7, vcc
	v_xor_b32_e32 v0, v0, v6
	v_sub_u32_e32 v0, v0, v6
	v_mul_lo_u32 v2, s2, v0
	v_add_u32_e32 v3, v3, v4
	s_load_dwordx2 s[6:7], s[4:5], 0x30
	s_load_dwordx4 s[0:3], s[4:5], 0x58
	v_sub_u32_e32 v4, v5, v2
	v_mul_hi_u32 v2, v4, v3
	v_mul_lo_u32 v3, v2, s9
	v_add_u32_e32 v5, 1, v2
	v_sub_u32_e32 v3, v4, v3
	v_cmp_le_u32_e32 vcc, s9, v3
	v_cndmask_b32_e32 v2, v2, v5, vcc
	v_subrev_u32_e32 v5, s9, v3
	v_cndmask_b32_e32 v3, v3, v5, vcc
	v_add_u32_e32 v5, 1, v2
	v_cmp_le_u32_e32 vcc, s9, v3
	v_cndmask_b32_e32 v5, v2, v5, vcc
	s_cbranch_scc1 .LBB17_3
; %bb.2:
	v_mov_b32_e32 v6, 0
	v_lshlrev_b64 v[2:3], 3, v[5:6]
	s_waitcnt lgkmcnt(0)
	v_mov_b32_e32 v6, s3
	v_add_co_u32_e32 v2, vcc, s2, v2
	v_addc_co_u32_e32 v3, vcc, v6, v3, vcc
	global_load_dword v2, v[2:3], off
	s_waitcnt vmcnt(0)
	v_mul_lo_u32 v2, s8, v2
	s_branch .LBB17_4
.LBB17_3:
	s_waitcnt lgkmcnt(0)
	v_mul_lo_u32 v2, v0, s6
	v_mad_u64_u32 v[2:3], s[2:3], v5, s15, v[2:3]
.LBB17_4:
	v_mul_lo_u32 v3, v5, s9
	v_mad_u64_u32 v[6:7], s[2:3], v0, s13, v[1:2]
	v_mul_lo_u32 v8, v5, s12
	v_sub_u32_e32 v0, v4, v3
	v_mul_lo_u32 v3, v0, s11
	s_load_dwordx4 s[8:11], s[4:5], 0x0
	v_cmp_le_i32_e32 vcc, s7, v1
	v_add3_u32 v3, v6, v8, v3
	v_ashrrev_i32_e32 v4, 31, v3
                                        ; implicit-def: $vgpr7
	s_and_saveexec_b64 s[2:3], vcc
	s_xor_b64 s[2:3], exec, s[2:3]
	s_cbranch_execz .LBB17_6
; %bb.5:
	v_lshlrev_b64 v[3:4], 2, v[3:4]
	s_waitcnt lgkmcnt(0)
	v_mov_b32_e32 v5, s9
	v_add_co_u32_e32 v3, vcc, s8, v3
	v_addc_co_u32_e32 v4, vcc, v5, v4, vcc
	global_load_dwordx2 v[6:7], v[3:4], off
                                        ; implicit-def: $vgpr3
                                        ; implicit-def: $vgpr5
.LBB17_6:
	s_andn2_saveexec_b64 s[12:13], s[2:3]
	s_cbranch_execz .LBB17_19
; %bb.7:
	s_load_dwordx2 s[2:3], s[4:5], 0x38
	s_load_dwordx2 s[16:17], s[4:5], 0x50
	s_waitcnt vmcnt(0)
	v_mov_b32_e32 v6, 0
	v_lshlrev_b64 v[5:6], 2, v[5:6]
	v_mov_b32_e32 v11, 0x3e91f4c4
	s_waitcnt lgkmcnt(0)
	v_mov_b32_e32 v7, s3
	v_add_co_u32_e32 v5, vcc, s2, v5
	v_addc_co_u32_e32 v6, vcc, v7, v6, vcc
	global_load_dword v5, v[5:6], off
	v_cvt_f32_i32_e32 v6, v1
	v_cmp_neq_f32_e64 vcc, s17, 1.0
	s_mov_b32 s2, 0x3f2aaaab
	v_mov_b32_e32 v12, 0x3ecccdef
	v_mul_f32_e32 v6, 0.5, v6
	v_cndmask_b32_e32 v8, 1.0, v6, vcc
	v_mov_b32_e32 v6, s17
	v_cmp_neq_f32_e32 vcc, 0, v8
	v_cndmask_b32_e32 v7, 1.0, v6, vcc
	v_frexp_mant_f32_e64 v6, |v7|
	v_cmp_gt_f32_e32 vcc, s2, v6
	v_cvt_f64_f32_e64 v[9:10], |v7|
	v_cndmask_b32_e64 v13, 1.0, 2.0, vcc
	v_mul_f32_e32 v6, v6, v13
	v_add_f32_e32 v14, 1.0, v6
	v_rcp_f32_e32 v15, v14
	v_frexp_exp_i32_f64_e32 v9, v[9:10]
	v_add_f32_e32 v13, -1.0, v6
	v_add_f32_e32 v16, -1.0, v14
	v_mul_f32_e32 v10, v13, v15
	v_sub_f32_e32 v6, v6, v16
	v_mul_f32_e32 v16, v14, v10
	v_fma_f32 v14, v10, v14, -v16
	v_fmac_f32_e32 v14, v10, v6
	v_add_f32_e32 v6, v16, v14
	v_subbrev_co_u32_e32 v9, vcc, 0, v9, vcc
	v_sub_f32_e32 v17, v13, v6
	v_sub_f32_e32 v16, v6, v16
	v_cvt_f32_i32_e32 v18, v9
	v_sub_f32_e32 v9, v13, v17
	v_sub_f32_e32 v13, v16, v14
	;; [unrolled: 1-line block ×3, first 2 shown]
	v_add_f32_e32 v6, v13, v6
	v_add_f32_e32 v6, v17, v6
	v_mul_f32_e32 v6, v15, v6
	v_add_f32_e32 v15, v10, v6
	v_sub_f32_e32 v9, v15, v10
	v_mul_f32_e32 v10, v15, v15
	v_sub_f32_e32 v6, v6, v9
	v_fma_f32 v9, v15, v15, -v10
	v_add_f32_e32 v16, v6, v6
	v_fmac_f32_e32 v9, v15, v16
	v_add_f32_e32 v16, v10, v9
	v_fmac_f32_e32 v11, 0x3e76c4e1, v16
	v_sub_f32_e32 v10, v16, v10
	v_mul_f32_e32 v17, v15, v16
	v_fmac_f32_e32 v12, v16, v11
	v_sub_f32_e32 v9, v9, v10
	v_fma_f32 v10, v16, v15, -v17
	v_fmac_f32_e32 v10, v16, v6
	v_mul_f32_e32 v11, v16, v12
	v_fmac_f32_e32 v10, v9, v15
	v_fma_f32 v16, v16, v12, -v11
	v_add_f32_e32 v19, v17, v10
	v_fmac_f32_e32 v16, v9, v12
	v_sub_f32_e32 v9, v19, v17
	v_add_f32_e32 v12, v11, v16
	v_sub_f32_e32 v9, v10, v9
	v_add_f32_e32 v10, 0x3f2aaaaa, v12
	v_sub_f32_e32 v11, v12, v11
	v_sub_f32_e32 v11, v16, v11
	v_add_f32_e32 v16, 0xbf2aaaaa, v10
	v_add_f32_e32 v11, 0x31739010, v11
	v_sub_f32_e32 v12, v12, v16
	v_add_f32_e32 v11, v11, v12
	v_add_f32_e32 v12, v10, v11
	s_mov_b32 s3, 0x3f317218
	v_mul_f32_e32 v13, 0x3f317218, v18
	v_sub_f32_e32 v10, v10, v12
	v_mul_f32_e32 v16, v19, v12
	v_fma_f32 v14, v18, s3, -v13
	v_add_f32_e32 v10, v11, v10
	v_fma_f32 v11, v19, v12, -v16
	v_fmac_f32_e32 v11, v19, v10
	v_fmac_f32_e32 v14, 0xb102e308, v18
	;; [unrolled: 1-line block ×3, first 2 shown]
	v_add_f32_e32 v10, v13, v14
	v_sub_f32_e32 v12, v10, v13
	v_add_f32_e32 v13, v16, v11
	s_waitcnt vmcnt(0)
	v_cvt_f32_i32_e32 v9, v5
	v_ldexp_f32 v5, v6, 1
	v_ldexp_f32 v6, v15, 1
	v_sub_f32_e32 v12, v14, v12
	v_sub_f32_e32 v14, v13, v16
	;; [unrolled: 1-line block ×3, first 2 shown]
	v_add_f32_e32 v14, v6, v13
	v_sub_f32_e32 v6, v14, v6
	v_sub_f32_e32 v6, v13, v6
	v_add_f32_e32 v5, v5, v11
	v_add_f32_e32 v5, v5, v6
	v_add_f32_e32 v6, v14, v5
	v_sub_f32_e32 v11, v6, v14
	v_add_f32_e32 v13, v10, v6
	v_sub_f32_e32 v5, v5, v11
	v_sub_f32_e32 v11, v13, v10
	;; [unrolled: 1-line block ×5, first 2 shown]
	v_add_f32_e32 v15, v12, v5
	v_add_f32_e32 v14, v6, v10
	v_sub_f32_e32 v6, v15, v12
	v_sub_f32_e32 v10, v15, v6
	;; [unrolled: 1-line block ×4, first 2 shown]
	v_add_f32_e32 v12, v5, v10
	v_ashrrev_i32_e32 v5, 1, v1
	v_ashrrev_i32_e32 v6, 31, v5
	v_lshlrev_b64 v[10:11], 2, v[5:6]
	v_mov_b32_e32 v6, s1
	v_add_co_u32_e32 v10, vcc, s0, v10
	v_addc_co_u32_e32 v11, vcc, v6, v11, vcc
	global_load_dword v6, v[10:11], off
	v_add_f32_e32 v10, v15, v14
	v_add_f32_e32 v11, v13, v10
	v_sub_f32_e32 v13, v11, v13
	v_sub_f32_e32 v10, v10, v13
	v_add_f32_e32 v10, v12, v10
	v_add_f32_e32 v12, v11, v10
	v_sub_f32_e32 v11, v12, v11
	v_sub_f32_e32 v10, v10, v11
	v_mul_f32_e32 v11, v8, v12
	v_fma_f32 v12, v8, v12, -v11
	v_fmac_f32_e32 v12, v8, v10
	s_movk_i32 s17, 0x204
	v_add_f32_e32 v10, v11, v12
	v_cmp_class_f32_e64 vcc, v11, s17
	v_sub_f32_e32 v13, v10, v11
	v_cndmask_b32_e32 v10, v10, v11, vcc
	s_mov_b32 s0, 0x42b17218
	v_mov_b32_e32 v11, 0x37000000
	v_cmp_eq_f32_e32 vcc, s0, v10
	v_cndmask_b32_e32 v11, 0, v11, vcc
	v_sub_f32_e32 v12, v12, v13
	v_sub_f32_e32 v13, v10, v11
	s_mov_b32 s1, 0x3fb8aa3b
	v_mul_f32_e32 v14, 0x3fb8aa3b, v13
	v_fma_f32 v15, v13, s1, -v14
	v_rndne_f32_e32 v16, v14
	v_fmac_f32_e32 v15, 0x32a5705f, v13
	v_sub_f32_e32 v14, v14, v16
	v_add_f32_e32 v14, v14, v15
	v_exp_f32_e32 v14, v14
	v_cvt_i32_f32_e32 v15, v16
	s_mov_b32 s15, 0x7f800000
	v_cmp_neq_f32_e64 vcc, |v10|, s15
	v_cndmask_b32_e32 v10, 0, v12, vcc
	s_mov_b32 s1, 0xc2ce8ed0
	v_add_f32_e32 v10, v11, v10
	v_ldexp_f32 v11, v14, v15
	v_cmp_ngt_f32_e32 vcc, s1, v13
	v_cndmask_b32_e32 v11, 0, v11, vcc
	v_mov_b32_e32 v12, 0x7f800000
	v_cmp_nlt_f32_e32 vcc, s0, v13
	v_cndmask_b32_e32 v11, v12, v11, vcc
	v_fma_f32 v10, v11, v10, v11
	v_cmp_class_f32_e64 vcc, v11, s17
	v_cndmask_b32_e32 v10, v10, v11, vcc
	v_trunc_f32_e32 v11, v8
	v_cmp_eq_f32_e32 vcc, v11, v8
	v_mul_f32_e32 v11, 0.5, v8
	v_trunc_f32_e32 v14, v11
	v_cmp_neq_f32_e64 s[0:1], v14, v11
	s_and_b64 s[0:1], vcc, s[0:1]
	v_cndmask_b32_e64 v11, 1.0, v7, s[0:1]
	s_brev_b32 s18, -2
	v_mov_b32_e32 v13, 0x7fc00000
	v_bfi_b32 v10, s18, v10, v11
	v_cmp_neq_f32_e64 s[2:3], v8, |v8|
	v_cmp_lt_f32_e64 s[6:7], |v7|, 1.0
	v_cndmask_b32_e32 v11, v13, v10, vcc
	v_cmp_gt_f32_e32 vcc, 0, v7
	s_xor_b64 s[2:3], s[2:3], s[6:7]
	v_cndmask_b32_e32 v10, v10, v11, vcc
	v_cndmask_b32_e64 v11, v12, 0, s[2:3]
	v_cmp_neq_f32_e64 vcc, |v7|, 1.0
	v_cndmask_b32_e32 v11, 1.0, v11, vcc
	v_cmp_class_f32_e64 vcc, v8, s17
	v_cndmask_b32_e32 v10, v10, v11, vcc
	v_cmp_eq_f32_e32 vcc, 0, v7
	v_cmp_gt_f32_e64 s[2:3], 0, v8
	s_xor_b64 s[2:3], s[2:3], vcc
	v_cmp_class_f32_e64 s[6:7], v7, s17
	v_cndmask_b32_e64 v8, v12, 0, s[2:3]
	v_cndmask_b32_e64 v11, 0, v7, s[0:1]
	v_bfi_b32 v8, s18, v8, v11
	s_or_b64 vcc, vcc, s[6:7]
	v_cndmask_b32_e32 v8, v10, v8, vcc
	v_cmp_o_f32_e32 vcc, v7, v7
	v_cndmask_b32_e32 v7, v13, v8, vcc
	v_mul_f32_e32 v7, v7, v9
	s_load_dwordx4 s[4:7], s[4:5], 0x40
	s_waitcnt vmcnt(0)
	v_div_scale_f32 v8, s[0:1], v6, v6, v7
	v_div_scale_f32 v9, vcc, v7, v6, v7
	s_waitcnt lgkmcnt(0)
	v_cmp_eq_f32_e64 s[0:1], s5, 0
	v_rcp_f32_e32 v10, v8
	v_fma_f32 v11, -v8, v10, 1.0
	v_fmac_f32_e32 v10, v11, v10
	v_mul_f32_e32 v11, v9, v10
	v_fma_f32 v12, -v8, v11, v9
	v_fmac_f32_e32 v11, v12, v10
	v_fma_f32 v8, -v8, v11, v9
	v_div_fmas_f32 v8, v8, v10, v11
	s_and_b64 vcc, exec, s[0:1]
	v_div_fixup_f32 v8, v8, v6, v7
	v_mul_f32_e32 v6, s4, v8
	s_cbranch_vccnz .LBB17_9
; %bb.8:
	v_cvt_f32_i32_e32 v5, v5
	v_div_scale_f32 v9, s[0:1], s4, s4, 1.0
	v_mov_b32_e32 v7, s7
	v_sub_f32_e32 v7, s16, v7
	v_subrev_f32_e32 v5, s7, v5
	v_max_f32_e32 v7, 0x3a83126f, v7
	v_div_scale_f32 v10, s[0:1], v7, v7, v5
	v_div_scale_f32 v11, s[0:1], 1.0, s4, 1.0
	v_div_scale_f32 v12, vcc, v5, v7, v5
	s_mov_b32 s2, 0x3f317217
	v_rcp_f32_e32 v13, v9
	v_fma_f32 v14, -v9, v13, 1.0
	v_fmac_f32_e32 v13, v14, v13
	v_rcp_f32_e32 v15, v10
	v_mul_f32_e32 v14, v11, v13
	v_fma_f32 v16, -v9, v14, v11
	v_fmac_f32_e32 v14, v16, v13
	v_fma_f32 v16, -v10, v15, 1.0
	v_fmac_f32_e32 v15, v16, v15
	v_fma_f32 v9, -v9, v14, v11
	v_mul_f32_e32 v11, v12, v15
	v_fma_f32 v16, -v10, v11, v12
	v_fmac_f32_e32 v11, v16, v15
	v_fma_f32 v10, -v10, v11, v12
	v_div_fmas_f32 v10, v10, v15, v11
	s_mov_b64 vcc, s[0:1]
	v_div_fmas_f32 v9, v9, v13, v14
	s_mov_b32 s0, 0x800000
	v_mov_b32_e32 v11, 0x41b17218
	v_div_fixup_f32 v5, v10, v7, v5 clamp
	v_sub_f32_e32 v5, 1.0, v5
	v_div_fixup_f32 v7, v9, s4, 1.0
	v_cmp_gt_f32_e32 vcc, s0, v7
	s_and_b64 s[0:1], vcc, exec
	s_cselect_b32 s0, 32, 0
	v_ldexp_f32 v7, v7, s0
	v_log_f32_e32 v7, v7
	v_mul_f32_e32 v9, s5, v5
	v_fma_f32 v5, -s5, v5, 1.0
	v_mul_f32_e32 v6, v5, v6
	v_mul_f32_e32 v5, 0x3f317217, v7
	v_fma_f32 v5, v7, s2, -v5
	v_fmac_f32_e32 v5, 0x3377d1cf, v7
	v_cndmask_b32_e32 v10, 0, v11, vcc
	v_fmac_f32_e32 v5, 0x3f317217, v7
	v_cmp_lt_f32_e64 vcc, |v7|, s15
	v_cndmask_b32_e32 v5, v7, v5, vcc
	v_sub_f32_e32 v5, v5, v10
	s_mov_b32 s0, 0x3dcccccd
	v_fma_f32 v5, v5, s0, 1.0
	v_fmac_f32_e32 v6, v9, v8
	v_mul_f32_e32 v7, s6, v5
	s_branch .LBB17_10
.LBB17_9:
	v_mov_b32_e32 v7, s6
.LBB17_10:
	v_and_b32_e32 v5, 0x7fffffff, v6
	s_brev_b32 s0, 18
	v_cmp_nlt_f32_e64 s[6:7], |v6|, s0
	v_lshrrev_b32_e32 v10, 23, v5
                                        ; implicit-def: $vgpr9
                                        ; implicit-def: $vgpr8
	s_and_saveexec_b64 s[0:1], s[6:7]
	s_xor_b64 s[16:17], exec, s[0:1]
	s_cbranch_execz .LBB17_12
; %bb.11:
	v_and_b32_e32 v8, 0x7fffff, v5
	v_or_b32_e32 v19, 0x800000, v8
	s_mov_b32 s0, 0xfe5163ab
	v_mad_u64_u32 v[8:9], s[0:1], v19, s0, 0
	v_mov_b32_e32 v12, 0
	s_mov_b32 s0, 0x3c439041
	v_mov_b32_e32 v11, v9
	v_mad_u64_u32 v[13:14], s[0:1], v19, s0, v[11:12]
	s_mov_b32 s0, 0xdb629599
	v_add_u32_e32 v9, 0xffffff88, v10
	v_mov_b32_e32 v11, v14
	v_mad_u64_u32 v[14:15], s[0:1], v19, s0, v[11:12]
	s_mov_b32 s0, 0xf534ddc0
	v_not_b32_e32 v18, 63
	v_mov_b32_e32 v11, v15
	v_mad_u64_u32 v[15:16], s[0:1], v19, s0, v[11:12]
	s_mov_b32 s0, 0xfc2757d1
	v_cmp_lt_u32_e32 vcc, 63, v9
	v_mov_b32_e32 v11, v16
	v_mad_u64_u32 v[16:17], s[0:1], v19, s0, v[11:12]
	v_cndmask_b32_e32 v11, 0, v18, vcc
	v_add_u32_e32 v9, v11, v9
	v_mov_b32_e32 v11, v17
	s_mov_b32 s0, 0x4e441529
	v_mad_u64_u32 v[17:18], s[0:1], v19, s0, v[11:12]
	v_not_b32_e32 v20, 31
	v_cmp_lt_u32_e64 s[0:1], 31, v9
	v_cndmask_b32_e64 v11, 0, v20, s[0:1]
	v_add_u32_e32 v9, v11, v9
	v_mov_b32_e32 v11, v18
	s_mov_b32 s2, 0xa2f9836e
	v_mad_u64_u32 v[11:12], s[2:3], v19, s2, v[11:12]
	v_cmp_lt_u32_e64 s[2:3], 31, v9
	v_cndmask_b32_e64 v18, 0, v20, s[2:3]
	v_add_u32_e32 v9, v18, v9
	v_cndmask_b32_e32 v18, v17, v15, vcc
	v_cndmask_b32_e32 v11, v11, v16, vcc
	;; [unrolled: 1-line block ×3, first 2 shown]
	v_cndmask_b32_e64 v19, v11, v18, s[0:1]
	v_cndmask_b32_e64 v11, v12, v11, s[0:1]
	v_cndmask_b32_e32 v12, v16, v14, vcc
	v_cndmask_b32_e64 v16, v18, v12, s[0:1]
	v_cndmask_b32_e64 v11, v11, v19, s[2:3]
	;; [unrolled: 1-line block ×3, first 2 shown]
	v_sub_u32_e32 v18, 32, v9
	v_alignbit_b32 v19, v11, v17, v18
	v_cmp_eq_u32_e64 s[4:5], 0, v9
	v_cndmask_b32_e64 v9, v19, v11, s[4:5]
	v_cndmask_b32_e32 v11, v15, v13, vcc
	v_cndmask_b32_e64 v12, v12, v11, s[0:1]
	v_cndmask_b32_e64 v13, v16, v12, s[2:3]
	v_alignbit_b32 v15, v17, v13, v18
	v_cndmask_b32_e32 v8, v14, v8, vcc
	v_cndmask_b32_e64 v15, v15, v17, s[4:5]
	v_bfe_u32 v19, v9, 29, 1
	v_cndmask_b32_e64 v8, v11, v8, s[0:1]
	v_alignbit_b32 v16, v9, v15, 30
	v_sub_u32_e32 v20, 0, v19
	v_cndmask_b32_e64 v8, v12, v8, s[2:3]
	v_xor_b32_e32 v16, v16, v20
	v_alignbit_b32 v11, v13, v8, v18
	v_cndmask_b32_e64 v11, v11, v13, s[4:5]
	v_ffbh_u32_e32 v13, v16
	v_alignbit_b32 v12, v15, v11, 30
	v_min_u32_e32 v13, 32, v13
	v_alignbit_b32 v8, v11, v8, 30
	v_xor_b32_e32 v12, v12, v20
	v_sub_u32_e32 v14, 31, v13
	v_xor_b32_e32 v8, v8, v20
	v_alignbit_b32 v15, v16, v12, v14
	v_alignbit_b32 v8, v12, v8, v14
	;; [unrolled: 1-line block ×3, first 2 shown]
	v_ffbh_u32_e32 v12, v11
	v_min_u32_e32 v12, 32, v12
	v_lshrrev_b32_e32 v17, 29, v9
	v_not_b32_e32 v14, v12
	v_alignbit_b32 v8, v11, v8, v14
	v_lshlrev_b32_e32 v11, 31, v17
	v_or_b32_e32 v14, 0x33000000, v11
	v_add_lshl_u32 v12, v12, v13, 23
	v_lshrrev_b32_e32 v8, 9, v8
	v_sub_u32_e32 v12, v14, v12
	v_or_b32_e32 v11, 0.5, v11
	v_lshlrev_b32_e32 v13, 23, v13
	v_or_b32_e32 v8, v12, v8
	v_lshrrev_b32_e32 v12, 9, v15
	v_sub_u32_e32 v11, v11, v13
	v_or_b32_e32 v11, v12, v11
	s_mov_b32 s0, 0x3fc90fda
	v_mul_f32_e32 v12, 0x3fc90fda, v11
	v_fma_f32 v13, v11, s0, -v12
	v_fmac_f32_e32 v13, 0x33a22168, v11
	v_fmac_f32_e32 v13, 0x3fc90fda, v8
	v_lshrrev_b32_e32 v9, 30, v9
	v_add_f32_e32 v8, v12, v13
	v_add_u32_e32 v9, v19, v9
	s_andn2_saveexec_b64 s[0:1], s[16:17]
	s_cbranch_execz .LBB17_14
	s_branch .LBB17_13
.LBB17_12:
	s_andn2_saveexec_b64 s[0:1], s[16:17]
	s_cbranch_execz .LBB17_14
.LBB17_13:
	s_mov_b32 s2, 0x3f22f983
	v_mul_f32_e64 v8, |v6|, s2
	v_rndne_f32_e32 v11, v8
	s_mov_b32 s2, 0xbfc90fda
	v_cvt_i32_f32_e32 v9, v11
	v_fma_f32 v8, v11, s2, |v6|
	v_fmac_f32_e32 v8, 0xb3a22168, v11
	v_fmac_f32_e32 v8, 0xa7c234c4, v11
.LBB17_14:
	s_or_b64 exec, exec, s[0:1]
                                        ; implicit-def: $vgpr12
                                        ; implicit-def: $vgpr11
	s_and_saveexec_b64 s[0:1], s[6:7]
	s_xor_b64 s[6:7], exec, s[0:1]
	s_cbranch_execz .LBB17_16
; %bb.15:
	v_and_b32_e32 v11, 0x7fffff, v5
	v_or_b32_e32 v20, 0x800000, v11
	s_mov_b32 s0, 0xfe5163ab
	v_mad_u64_u32 v[11:12], s[0:1], v20, s0, 0
	v_mov_b32_e32 v13, 0
	s_mov_b32 s0, 0x3c439041
	v_mad_u64_u32 v[14:15], s[0:1], v20, s0, v[12:13]
	s_mov_b32 s0, 0xdb629599
	v_add_u32_e32 v10, 0xffffff88, v10
	v_mov_b32_e32 v12, v15
	v_mad_u64_u32 v[15:16], s[0:1], v20, s0, v[12:13]
	s_mov_b32 s0, 0xf534ddc0
	v_not_b32_e32 v19, 63
	v_mov_b32_e32 v12, v16
	v_mad_u64_u32 v[16:17], s[0:1], v20, s0, v[12:13]
	s_mov_b32 s0, 0xfc2757d1
	v_cmp_lt_u32_e32 vcc, 63, v10
	v_mov_b32_e32 v12, v17
	v_mad_u64_u32 v[17:18], s[0:1], v20, s0, v[12:13]
	v_cndmask_b32_e32 v12, 0, v19, vcc
	v_add_u32_e32 v10, v12, v10
	v_mov_b32_e32 v12, v18
	s_mov_b32 s0, 0x4e441529
	v_mad_u64_u32 v[18:19], s[0:1], v20, s0, v[12:13]
	v_not_b32_e32 v21, 31
	v_cmp_lt_u32_e64 s[0:1], 31, v10
	v_cndmask_b32_e64 v12, 0, v21, s[0:1]
	v_add_u32_e32 v10, v12, v10
	v_mov_b32_e32 v12, v19
	s_mov_b32 s2, 0xa2f9836e
	v_mad_u64_u32 v[12:13], s[2:3], v20, s2, v[12:13]
	v_cmp_lt_u32_e64 s[2:3], 31, v10
	v_cndmask_b32_e64 v19, 0, v21, s[2:3]
	v_add_u32_e32 v10, v19, v10
	v_cndmask_b32_e32 v19, v18, v16, vcc
	v_cndmask_b32_e32 v12, v12, v17, vcc
	;; [unrolled: 1-line block ×3, first 2 shown]
	v_cndmask_b32_e64 v20, v12, v19, s[0:1]
	v_cndmask_b32_e64 v12, v13, v12, s[0:1]
	v_cndmask_b32_e32 v13, v17, v15, vcc
	v_cndmask_b32_e64 v17, v19, v13, s[0:1]
	v_cndmask_b32_e64 v12, v12, v20, s[2:3]
	;; [unrolled: 1-line block ×3, first 2 shown]
	v_sub_u32_e32 v19, 32, v10
	v_alignbit_b32 v20, v12, v18, v19
	v_cmp_eq_u32_e64 s[4:5], 0, v10
	v_cndmask_b32_e64 v10, v20, v12, s[4:5]
	v_cndmask_b32_e32 v12, v16, v14, vcc
	v_cndmask_b32_e64 v13, v13, v12, s[0:1]
	v_cndmask_b32_e64 v14, v17, v13, s[2:3]
	v_alignbit_b32 v16, v18, v14, v19
	v_cndmask_b32_e32 v11, v15, v11, vcc
	v_cndmask_b32_e64 v16, v16, v18, s[4:5]
	v_bfe_u32 v20, v10, 29, 1
	v_cndmask_b32_e64 v11, v12, v11, s[0:1]
	v_alignbit_b32 v17, v10, v16, 30
	v_sub_u32_e32 v21, 0, v20
	v_cndmask_b32_e64 v11, v13, v11, s[2:3]
	v_xor_b32_e32 v17, v17, v21
	v_alignbit_b32 v12, v14, v11, v19
	v_cndmask_b32_e64 v12, v12, v14, s[4:5]
	v_ffbh_u32_e32 v14, v17
	v_alignbit_b32 v13, v16, v12, 30
	v_min_u32_e32 v14, 32, v14
	v_alignbit_b32 v11, v12, v11, 30
	v_xor_b32_e32 v13, v13, v21
	v_sub_u32_e32 v15, 31, v14
	v_xor_b32_e32 v11, v11, v21
	v_alignbit_b32 v16, v17, v13, v15
	v_alignbit_b32 v11, v13, v11, v15
	;; [unrolled: 1-line block ×3, first 2 shown]
	v_ffbh_u32_e32 v13, v12
	v_min_u32_e32 v13, 32, v13
	v_lshrrev_b32_e32 v18, 29, v10
	v_not_b32_e32 v15, v13
	v_alignbit_b32 v11, v12, v11, v15
	v_lshlrev_b32_e32 v12, 31, v18
	v_or_b32_e32 v15, 0x33000000, v12
	v_add_lshl_u32 v13, v13, v14, 23
	v_lshrrev_b32_e32 v11, 9, v11
	v_sub_u32_e32 v13, v15, v13
	v_or_b32_e32 v12, 0.5, v12
	v_lshlrev_b32_e32 v14, 23, v14
	v_or_b32_e32 v11, v13, v11
	v_lshrrev_b32_e32 v13, 9, v16
	v_sub_u32_e32 v12, v12, v14
	v_or_b32_e32 v12, v13, v12
	s_mov_b32 s0, 0x3fc90fda
	v_mul_f32_e32 v13, 0x3fc90fda, v12
	v_fma_f32 v14, v12, s0, -v13
	v_fmac_f32_e32 v14, 0x33a22168, v12
	v_fmac_f32_e32 v14, 0x3fc90fda, v11
	v_lshrrev_b32_e32 v10, 30, v10
	v_add_f32_e32 v11, v13, v14
	v_add_u32_e32 v12, v20, v10
	s_andn2_saveexec_b64 s[0:1], s[6:7]
	s_cbranch_execnz .LBB17_17
	s_branch .LBB17_18
.LBB17_16:
	s_andn2_saveexec_b64 s[0:1], s[6:7]
	s_cbranch_execz .LBB17_18
.LBB17_17:
	s_mov_b32 s2, 0x3f22f983
	v_mul_f32_e64 v10, |v6|, s2
	v_rndne_f32_e32 v10, v10
	s_mov_b32 s2, 0xbfc90fda
	v_cvt_i32_f32_e32 v12, v10
	v_fma_f32 v11, v10, s2, |v6|
	v_fmac_f32_e32 v11, 0xb3a22168, v10
	v_fmac_f32_e32 v11, 0xa7c234c4, v10
.LBB17_18:
	s_or_b64 exec, exec, s[0:1]
	v_lshlrev_b64 v[3:4], 2, v[3:4]
	v_mov_b32_e32 v10, s9
	v_add_co_u32_e32 v3, vcc, s8, v3
	v_addc_co_u32_e32 v4, vcc, v10, v4, vcc
	global_load_dwordx2 v[3:4], v[3:4], off
	v_mul_f32_e32 v10, v8, v8
	v_mov_b32_e32 v13, 0x3c0881c4
	v_mov_b32_e32 v14, 0x3c0881c4
	v_mul_f32_e32 v22, v11, v11
	v_mov_b32_e32 v15, 0xbe2aaa9d
	v_mov_b32_e32 v17, 0xbab64f3b
	v_fmac_f32_e32 v14, 0xb94c1982, v10
	v_fmac_f32_e32 v13, 0xb94c1982, v22
	v_mov_b32_e32 v16, 0xbab64f3b
	v_mov_b32_e32 v18, 0x3d2aabf7
	v_fma_f32 v14, v10, v14, v15
	v_fmac_f32_e32 v15, v22, v13
	v_and_b32_e32 v13, 1, v12
	v_lshlrev_b32_e32 v12, 30, v12
	v_fmac_f32_e32 v17, 0x37d75334, v10
	v_mov_b32_e32 v19, 0xbf000004
	v_xor_b32_e32 v5, v5, v6
	v_fmac_f32_e32 v16, 0x37d75334, v22
	v_and_b32_e32 v12, 0x80000000, v12
	v_fma_f32 v17, v10, v17, v18
	v_and_b32_e32 v20, 1, v9
	v_fmac_f32_e32 v18, v22, v16
	v_xor_b32_e32 v5, v5, v12
	v_mul_f32_e32 v12, v10, v14
	v_fma_f32 v14, v10, v17, v19
	v_mul_f32_e32 v15, v22, v15
	v_fmac_f32_e32 v19, v22, v18
	v_fmac_f32_e32 v8, v8, v12
	v_fma_f32 v10, v10, v14, 1.0
	v_cmp_eq_u32_e32 vcc, 0, v20
	v_fmac_f32_e32 v11, v11, v15
	v_fma_f32 v12, v22, v19, 1.0
	v_cndmask_b32_e64 v8, -v8, v10, vcc
	v_cmp_eq_u32_e32 vcc, 0, v13
	v_lshlrev_b32_e32 v9, 30, v9
	s_movk_i32 s0, 0x1f8
	v_cndmask_b32_e32 v10, v12, v11, vcc
	v_mov_b32_e32 v21, 0x7fc00000
	v_and_b32_e32 v9, 0x80000000, v9
	v_xor_b32_e32 v5, v5, v10
	v_cmp_class_f32_e64 vcc, v6, s0
	v_xor_b32_e32 v8, v9, v8
	v_cndmask_b32_e32 v5, v21, v5, vcc
	v_cndmask_b32_e32 v6, v21, v8, vcc
	v_mul_f32_e32 v5, v7, v5
	v_mul_f32_e32 v8, v7, v6
	s_waitcnt vmcnt(0)
	v_mul_f32_e32 v6, v4, v5
	v_mul_f32_e32 v7, v3, v5
	v_fma_f32 v6, v8, v3, -v6
	v_fmac_f32_e32 v7, v8, v4
.LBB17_19:
	s_or_b64 exec, exec, s[12:13]
	v_mul_lo_u32 v0, v0, s14
	s_waitcnt vmcnt(0)
	v_cvt_f16_f32_e32 v3, v6
	v_cvt_f16_f32_sdwa v4, v7 dst_sel:WORD_1 dst_unused:UNUSED_PAD src0_sel:DWORD
	v_add3_u32 v0, v0, v1, v2
	v_ashrrev_i32_e32 v1, 31, v0
	v_lshlrev_b64 v[0:1], 1, v[0:1]
	v_or_b32_e32 v2, v4, v3
	s_waitcnt lgkmcnt(0)
	v_mov_b32_e32 v3, s11
	v_add_co_u32_e32 v0, vcc, s10, v0
	v_addc_co_u32_e32 v1, vcc, v3, v1, vcc
	global_store_dword v[0:1], v2, off
.LBB17_20:
	s_endpgm
	.section	.rodata,"a",@progbits
	.p2align	6, 0x0
	.amdhsa_kernel _ZL9rope_normILb1ELb1Ef6__halfEvPKT1_PT2_iiiiiiiiiiPKifff14rope_corr_dimsfPKfPKli
		.amdhsa_group_segment_fixed_size 0
		.amdhsa_private_segment_fixed_size 0
		.amdhsa_kernarg_size 368
		.amdhsa_user_sgpr_count 6
		.amdhsa_user_sgpr_private_segment_buffer 1
		.amdhsa_user_sgpr_dispatch_ptr 0
		.amdhsa_user_sgpr_queue_ptr 0
		.amdhsa_user_sgpr_kernarg_segment_ptr 1
		.amdhsa_user_sgpr_dispatch_id 0
		.amdhsa_user_sgpr_flat_scratch_init 0
		.amdhsa_user_sgpr_private_segment_size 0
		.amdhsa_uses_dynamic_stack 0
		.amdhsa_system_sgpr_private_segment_wavefront_offset 0
		.amdhsa_system_sgpr_workgroup_id_x 1
		.amdhsa_system_sgpr_workgroup_id_y 1
		.amdhsa_system_sgpr_workgroup_id_z 0
		.amdhsa_system_sgpr_workgroup_info 0
		.amdhsa_system_vgpr_workitem_id 1
		.amdhsa_next_free_vgpr 23
		.amdhsa_next_free_sgpr 19
		.amdhsa_reserve_vcc 1
		.amdhsa_reserve_flat_scratch 0
		.amdhsa_float_round_mode_32 0
		.amdhsa_float_round_mode_16_64 0
		.amdhsa_float_denorm_mode_32 3
		.amdhsa_float_denorm_mode_16_64 3
		.amdhsa_dx10_clamp 1
		.amdhsa_ieee_mode 1
		.amdhsa_fp16_overflow 0
		.amdhsa_exception_fp_ieee_invalid_op 0
		.amdhsa_exception_fp_denorm_src 0
		.amdhsa_exception_fp_ieee_div_zero 0
		.amdhsa_exception_fp_ieee_overflow 0
		.amdhsa_exception_fp_ieee_underflow 0
		.amdhsa_exception_fp_ieee_inexact 0
		.amdhsa_exception_int_div_zero 0
	.end_amdhsa_kernel
	.section	.text._ZL9rope_normILb1ELb1Ef6__halfEvPKT1_PT2_iiiiiiiiiiPKifff14rope_corr_dimsfPKfPKli,"axG",@progbits,_ZL9rope_normILb1ELb1Ef6__halfEvPKT1_PT2_iiiiiiiiiiPKifff14rope_corr_dimsfPKfPKli,comdat
.Lfunc_end17:
	.size	_ZL9rope_normILb1ELb1Ef6__halfEvPKT1_PT2_iiiiiiiiiiPKifff14rope_corr_dimsfPKfPKli, .Lfunc_end17-_ZL9rope_normILb1ELb1Ef6__halfEvPKT1_PT2_iiiiiiiiiiPKifff14rope_corr_dimsfPKfPKli
                                        ; -- End function
	.set _ZL9rope_normILb1ELb1Ef6__halfEvPKT1_PT2_iiiiiiiiiiPKifff14rope_corr_dimsfPKfPKli.num_vgpr, 23
	.set _ZL9rope_normILb1ELb1Ef6__halfEvPKT1_PT2_iiiiiiiiiiPKifff14rope_corr_dimsfPKfPKli.num_agpr, 0
	.set _ZL9rope_normILb1ELb1Ef6__halfEvPKT1_PT2_iiiiiiiiiiPKifff14rope_corr_dimsfPKfPKli.numbered_sgpr, 19
	.set _ZL9rope_normILb1ELb1Ef6__halfEvPKT1_PT2_iiiiiiiiiiPKifff14rope_corr_dimsfPKfPKli.num_named_barrier, 0
	.set _ZL9rope_normILb1ELb1Ef6__halfEvPKT1_PT2_iiiiiiiiiiPKifff14rope_corr_dimsfPKfPKli.private_seg_size, 0
	.set _ZL9rope_normILb1ELb1Ef6__halfEvPKT1_PT2_iiiiiiiiiiPKifff14rope_corr_dimsfPKfPKli.uses_vcc, 1
	.set _ZL9rope_normILb1ELb1Ef6__halfEvPKT1_PT2_iiiiiiiiiiPKifff14rope_corr_dimsfPKfPKli.uses_flat_scratch, 0
	.set _ZL9rope_normILb1ELb1Ef6__halfEvPKT1_PT2_iiiiiiiiiiPKifff14rope_corr_dimsfPKfPKli.has_dyn_sized_stack, 0
	.set _ZL9rope_normILb1ELb1Ef6__halfEvPKT1_PT2_iiiiiiiiiiPKifff14rope_corr_dimsfPKfPKli.has_recursion, 0
	.set _ZL9rope_normILb1ELb1Ef6__halfEvPKT1_PT2_iiiiiiiiiiPKifff14rope_corr_dimsfPKfPKli.has_indirect_call, 0
	.section	.AMDGPU.csdata,"",@progbits
; Kernel info:
; codeLenInByte = 3796
; TotalNumSgprs: 23
; NumVgprs: 23
; ScratchSize: 0
; MemoryBound: 0
; FloatMode: 240
; IeeeMode: 1
; LDSByteSize: 0 bytes/workgroup (compile time only)
; SGPRBlocks: 2
; VGPRBlocks: 5
; NumSGPRsForWavesPerEU: 23
; NumVGPRsForWavesPerEU: 23
; Occupancy: 10
; WaveLimiterHint : 0
; COMPUTE_PGM_RSRC2:SCRATCH_EN: 0
; COMPUTE_PGM_RSRC2:USER_SGPR: 6
; COMPUTE_PGM_RSRC2:TRAP_HANDLER: 0
; COMPUTE_PGM_RSRC2:TGID_X_EN: 1
; COMPUTE_PGM_RSRC2:TGID_Y_EN: 1
; COMPUTE_PGM_RSRC2:TGID_Z_EN: 0
; COMPUTE_PGM_RSRC2:TIDIG_COMP_CNT: 1
	.section	.text._ZL9rope_normILb1ELb0E6__halfS0_EvPKT1_PT2_iiiiiiiiiiPKifff14rope_corr_dimsfPKfPKli,"axG",@progbits,_ZL9rope_normILb1ELb0E6__halfS0_EvPKT1_PT2_iiiiiiiiiiPKifff14rope_corr_dimsfPKfPKli,comdat
	.globl	_ZL9rope_normILb1ELb0E6__halfS0_EvPKT1_PT2_iiiiiiiiiiPKifff14rope_corr_dimsfPKfPKli ; -- Begin function _ZL9rope_normILb1ELb0E6__halfS0_EvPKT1_PT2_iiiiiiiiiiPKifff14rope_corr_dimsfPKfPKli
	.p2align	8
	.type	_ZL9rope_normILb1ELb0E6__halfS0_EvPKT1_PT2_iiiiiiiiiiPKifff14rope_corr_dimsfPKfPKli,@function
_ZL9rope_normILb1ELb0E6__halfS0_EvPKT1_PT2_iiiiiiiiiiPKifff14rope_corr_dimsfPKfPKli: ; @_ZL9rope_normILb1ELb0E6__halfS0_EvPKT1_PT2_iiiiiiiiiiPKifff14rope_corr_dimsfPKfPKli
; %bb.0:
	s_load_dword s2, s[4:5], 0x7c
	s_load_dwordx8 s[8:15], s[4:5], 0x10
	s_add_u32 s0, s4, 0x70
	s_addc_u32 s1, s5, 0
	s_waitcnt lgkmcnt(0)
	s_lshr_b32 s2, s2, 16
	s_mul_i32 s7, s7, s2
	v_add_lshl_u32 v1, s7, v1, 1
	v_cmp_gt_i32_e32 vcc, s8, v1
	s_and_saveexec_b64 s[2:3], vcc
	s_cbranch_execz .LBB18_20
; %bb.1:
	s_mul_i32 s2, s10, s9
	s_abs_i32 s3, s2
	v_cvt_f32_u32_e32 v2, s3
	s_load_dword s0, s[0:1], 0xc
	s_sub_i32 s1, 0, s3
	v_cvt_f32_u32_e32 v3, s9
	v_rcp_iflag_f32_e32 v2, v2
	s_waitcnt lgkmcnt(0)
	s_and_b32 s0, s0, 0xffff
	s_mul_i32 s6, s6, s0
	v_mul_f32_e32 v2, 0x4f7ffffe, v2
	v_cvt_u32_f32_e32 v2, v2
	v_add_u32_e32 v5, s6, v0
	v_sub_u32_e32 v0, 0, v5
	v_max_i32_e32 v0, v5, v0
	v_mul_lo_u32 v4, s1, v2
	v_rcp_iflag_f32_e32 v3, v3
	s_sub_i32 s0, 0, s9
	v_xor_b32_e32 v6, s2, v5
	v_mul_hi_u32 v4, v2, v4
	v_mul_f32_e32 v3, 0x4f7ffffe, v3
	v_cvt_u32_f32_e32 v3, v3
	v_ashrrev_i32_e32 v6, 31, v6
	v_add_u32_e32 v2, v2, v4
	v_mul_hi_u32 v2, v0, v2
	v_mul_lo_u32 v4, s0, v3
	s_load_dwordx2 s[0:1], s[4:5], 0x30
	v_mul_lo_u32 v7, v2, s3
	v_add_u32_e32 v8, 1, v2
	v_mul_hi_u32 v4, v3, v4
	v_sub_u32_e32 v0, v0, v7
	v_cmp_le_u32_e32 vcc, s3, v0
	v_subrev_u32_e32 v7, s3, v0
	v_cndmask_b32_e32 v2, v2, v8, vcc
	v_cndmask_b32_e32 v0, v0, v7, vcc
	v_add_u32_e32 v7, 1, v2
	v_cmp_le_u32_e32 vcc, s3, v0
	v_cndmask_b32_e32 v0, v2, v7, vcc
	v_xor_b32_e32 v0, v0, v6
	v_sub_u32_e32 v0, v0, v6
	v_mul_lo_u32 v2, s2, v0
	v_add_u32_e32 v3, v3, v4
	s_load_dword s2, s[4:5], 0x68
	v_sub_u32_e32 v4, v5, v2
	v_mul_hi_u32 v2, v4, v3
	s_waitcnt lgkmcnt(0)
	s_cmp_eq_u32 s2, 0
	v_mul_lo_u32 v3, v2, s9
	v_add_u32_e32 v5, 1, v2
	v_sub_u32_e32 v3, v4, v3
	v_cmp_le_u32_e32 vcc, s9, v3
	v_cndmask_b32_e32 v2, v2, v5, vcc
	v_subrev_u32_e32 v5, s9, v3
	v_cndmask_b32_e32 v3, v3, v5, vcc
	v_add_u32_e32 v5, 1, v2
	v_cmp_le_u32_e32 vcc, s9, v3
	v_cndmask_b32_e32 v5, v2, v5, vcc
	s_cbranch_scc1 .LBB18_3
; %bb.2:
	s_load_dwordx2 s[6:7], s[4:5], 0x60
	v_mov_b32_e32 v6, 0
	v_lshlrev_b64 v[2:3], 3, v[5:6]
	s_waitcnt lgkmcnt(0)
	v_mov_b32_e32 v6, s7
	v_add_co_u32_e32 v2, vcc, s6, v2
	v_addc_co_u32_e32 v3, vcc, v6, v3, vcc
	global_load_dword v2, v[2:3], off
	s_waitcnt vmcnt(0)
	v_mul_lo_u32 v2, s2, v2
	s_branch .LBB18_4
.LBB18_3:
	v_mul_lo_u32 v2, v0, s0
	v_mad_u64_u32 v[2:3], s[2:3], v5, s15, v[2:3]
.LBB18_4:
	v_mul_lo_u32 v3, v5, s9
	v_mad_u64_u32 v[6:7], s[2:3], v0, s13, v[1:2]
	v_mul_lo_u32 v8, v5, s12
	v_sub_u32_e32 v0, v4, v3
	v_mul_lo_u32 v3, v0, s11
	s_load_dwordx4 s[8:11], s[4:5], 0x0
	v_cmp_le_i32_e32 vcc, s1, v1
	v_add3_u32 v3, v6, v8, v3
	v_ashrrev_i32_e32 v4, 31, v3
                                        ; implicit-def: $vgpr6
	s_and_saveexec_b64 s[0:1], vcc
	s_xor_b64 s[0:1], exec, s[0:1]
	s_cbranch_execz .LBB18_6
; %bb.5:
	v_lshlrev_b64 v[3:4], 1, v[3:4]
	s_waitcnt lgkmcnt(0)
	v_mov_b32_e32 v5, s9
	v_add_co_u32_e32 v3, vcc, s8, v3
	v_addc_co_u32_e32 v4, vcc, v5, v4, vcc
	global_load_dword v6, v[3:4], off
                                        ; implicit-def: $vgpr3
                                        ; implicit-def: $vgpr5
.LBB18_6:
	s_andn2_saveexec_b64 s[6:7], s[0:1]
	s_cbranch_execz .LBB18_19
; %bb.7:
	s_load_dwordx2 s[0:1], s[4:5], 0x38
	s_waitcnt vmcnt(0)
	v_mov_b32_e32 v6, 0
	v_lshlrev_b64 v[5:6], 2, v[5:6]
	v_mov_b32_e32 v10, 0x3e91f4c4
	v_mov_b32_e32 v11, 0x3ecccdef
	s_waitcnt lgkmcnt(0)
	v_mov_b32_e32 v7, s1
	v_add_co_u32_e32 v5, vcc, s0, v5
	v_addc_co_u32_e32 v6, vcc, v7, v6, vcc
	global_load_dword v7, v[5:6], off
	s_load_dwordx4 s[16:19], s[4:5], 0x40
	s_load_dwordx2 s[12:13], s[4:5], 0x50
	v_cvt_f32_i32_e32 v5, v1
	s_mov_b32 s0, 0x3f2aaaab
	s_mov_b32 s1, 0x3f317218
	s_movk_i32 s5, 0x204
	v_mul_f32_e32 v5, 0.5, v5
	s_waitcnt lgkmcnt(0)
	v_cmp_neq_f32_e64 vcc, s13, 1.0
	v_cndmask_b32_e32 v6, 1.0, v5, vcc
	v_mov_b32_e32 v5, s13
	v_cmp_neq_f32_e32 vcc, 0, v6
	v_cndmask_b32_e32 v5, 1.0, v5, vcc
	v_frexp_mant_f32_e64 v12, |v5|
	v_cmp_gt_f32_e32 vcc, s0, v12
	v_cndmask_b32_e64 v13, 1.0, 2.0, vcc
	v_mul_f32_e32 v12, v12, v13
	v_add_f32_e32 v14, 1.0, v12
	v_cvt_f64_f32_e64 v[8:9], |v5|
	v_rcp_f32_e32 v15, v14
	v_add_f32_e32 v13, -1.0, v12
	v_add_f32_e32 v16, -1.0, v14
	v_frexp_exp_i32_f64_e32 v8, v[8:9]
	v_sub_f32_e32 v9, v12, v16
	v_mul_f32_e32 v12, v13, v15
	v_mul_f32_e32 v16, v14, v12
	v_fma_f32 v14, v12, v14, -v16
	v_fmac_f32_e32 v14, v12, v9
	v_add_f32_e32 v9, v16, v14
	v_sub_f32_e32 v17, v13, v9
	v_sub_f32_e32 v16, v9, v16
	;; [unrolled: 1-line block ×5, first 2 shown]
	v_add_f32_e32 v9, v14, v9
	v_add_f32_e32 v9, v17, v9
	v_mul_f32_e32 v9, v15, v9
	v_add_f32_e32 v14, v12, v9
	v_sub_f32_e32 v12, v14, v12
	v_mul_f32_e32 v15, v14, v14
	v_sub_f32_e32 v9, v9, v12
	v_fma_f32 v12, v14, v14, -v15
	v_add_f32_e32 v16, v9, v9
	v_fmac_f32_e32 v12, v14, v16
	v_add_f32_e32 v16, v15, v12
	v_fmac_f32_e32 v10, 0x3e76c4e1, v16
	v_sub_f32_e32 v15, v16, v15
	v_mul_f32_e32 v17, v14, v16
	v_fmac_f32_e32 v11, v16, v10
	v_sub_f32_e32 v10, v12, v15
	v_fma_f32 v12, v16, v14, -v17
	v_fmac_f32_e32 v12, v16, v9
	v_mul_f32_e32 v15, v16, v11
	v_fmac_f32_e32 v12, v10, v14
	v_fma_f32 v16, v16, v11, -v15
	v_add_f32_e32 v18, v17, v12
	v_fmac_f32_e32 v16, v10, v11
	v_sub_f32_e32 v10, v18, v17
	v_add_f32_e32 v11, v15, v16
	v_sub_f32_e32 v10, v12, v10
	v_add_f32_e32 v12, 0x3f2aaaaa, v11
	v_sub_f32_e32 v15, v11, v15
	v_sub_f32_e32 v15, v16, v15
	v_add_f32_e32 v16, 0xbf2aaaaa, v12
	v_subbrev_co_u32_e32 v8, vcc, 0, v8, vcc
	v_add_f32_e32 v15, 0x31739010, v15
	v_sub_f32_e32 v11, v11, v16
	v_cvt_f32_i32_e32 v8, v8
	v_add_f32_e32 v11, v15, v11
	v_add_f32_e32 v15, v12, v11
	v_sub_f32_e32 v12, v12, v15
	v_mul_f32_e32 v16, v18, v15
	v_add_f32_e32 v11, v11, v12
	v_fma_f32 v12, v18, v15, -v16
	v_mul_f32_e32 v13, 0x3f317218, v8
	v_fmac_f32_e32 v12, v18, v11
	v_fmac_f32_e32 v12, v10, v15
	v_fma_f32 v10, v8, s1, -v13
	v_fmac_f32_e32 v10, 0xb102e308, v8
	v_add_f32_e32 v11, v13, v10
	v_sub_f32_e32 v13, v11, v13
	v_sub_f32_e32 v10, v10, v13
	v_add_f32_e32 v13, v16, v12
	v_ldexp_f32 v8, v9, 1
	v_ldexp_f32 v9, v14, 1
	v_sub_f32_e32 v14, v13, v16
	v_sub_f32_e32 v12, v12, v14
	v_add_f32_e32 v14, v9, v13
	v_sub_f32_e32 v9, v14, v9
	v_sub_f32_e32 v9, v13, v9
	v_add_f32_e32 v8, v8, v12
	v_add_f32_e32 v8, v8, v9
	;; [unrolled: 1-line block ×3, first 2 shown]
	v_sub_f32_e32 v12, v9, v14
	v_sub_f32_e32 v8, v8, v12
	v_add_f32_e32 v12, v11, v9
	v_sub_f32_e32 v13, v12, v11
	v_sub_f32_e32 v14, v12, v13
	;; [unrolled: 1-line block ×4, first 2 shown]
	v_add_f32_e32 v9, v9, v11
	v_add_f32_e32 v11, v10, v8
	v_sub_f32_e32 v13, v11, v10
	v_sub_f32_e32 v14, v11, v13
	;; [unrolled: 1-line block ×4, first 2 shown]
	v_add_f32_e32 v9, v11, v9
	v_add_f32_e32 v8, v8, v10
	;; [unrolled: 1-line block ×3, first 2 shown]
	v_sub_f32_e32 v11, v10, v12
	v_sub_f32_e32 v9, v9, v11
	v_add_f32_e32 v8, v8, v9
	v_add_f32_e32 v9, v10, v8
	v_sub_f32_e32 v10, v9, v10
	v_sub_f32_e32 v8, v8, v10
	v_mul_f32_e32 v10, v6, v9
	v_fma_f32 v9, v6, v9, -v10
	v_fmac_f32_e32 v9, v6, v8
	v_add_f32_e32 v8, v10, v9
	v_cmp_class_f32_e64 vcc, v10, s5
	v_sub_f32_e32 v11, v8, v10
	v_cndmask_b32_e32 v8, v8, v10, vcc
	s_mov_b32 s0, 0x42b17218
	v_mov_b32_e32 v10, 0x37000000
	v_cmp_eq_f32_e32 vcc, s0, v8
	v_cndmask_b32_e32 v10, 0, v10, vcc
	v_sub_f32_e32 v9, v9, v11
	v_sub_f32_e32 v11, v8, v10
	s_mov_b32 s1, 0x3fb8aa3b
	v_mul_f32_e32 v12, 0x3fb8aa3b, v11
	v_fma_f32 v13, v11, s1, -v12
	v_rndne_f32_e32 v14, v12
	v_fmac_f32_e32 v13, 0x32a5705f, v11
	v_sub_f32_e32 v12, v12, v14
	v_add_f32_e32 v12, v12, v13
	v_exp_f32_e32 v12, v12
	v_cvt_i32_f32_e32 v13, v14
	s_mov_b32 s4, 0x7f800000
	v_cmp_neq_f32_e64 vcc, |v8|, s4
	s_mov_b32 s1, 0xc2ce8ed0
	v_cndmask_b32_e32 v8, 0, v9, vcc
	v_ldexp_f32 v9, v12, v13
	v_cmp_ngt_f32_e32 vcc, s1, v11
	v_add_f32_e32 v8, v10, v8
	v_cndmask_b32_e32 v9, 0, v9, vcc
	v_mov_b32_e32 v10, 0x7f800000
	v_cmp_nlt_f32_e32 vcc, s0, v11
	v_cndmask_b32_e32 v9, v10, v9, vcc
	v_fma_f32 v8, v9, v8, v9
	v_cmp_class_f32_e64 vcc, v9, s5
	v_cndmask_b32_e32 v8, v8, v9, vcc
	v_trunc_f32_e32 v9, v6
	v_cmp_eq_f32_e32 vcc, v9, v6
	v_mul_f32_e32 v9, 0.5, v6
	v_trunc_f32_e32 v12, v9
	v_cmp_neq_f32_e64 s[0:1], v12, v9
	s_and_b64 s[0:1], vcc, s[0:1]
	v_cndmask_b32_e64 v9, 1.0, v5, s[0:1]
	s_brev_b32 s13, -2
	v_mov_b32_e32 v11, 0x7fc00000
	v_bfi_b32 v8, s13, v8, v9
	v_cmp_neq_f32_e64 s[2:3], v6, |v6|
	v_cmp_lt_f32_e64 s[20:21], |v5|, 1.0
	v_cndmask_b32_e32 v9, v11, v8, vcc
	v_cmp_gt_f32_e32 vcc, 0, v5
	s_xor_b64 s[2:3], s[2:3], s[20:21]
	v_cndmask_b32_e32 v8, v8, v9, vcc
	v_cndmask_b32_e64 v9, v10, 0, s[2:3]
	v_cmp_neq_f32_e64 vcc, |v5|, 1.0
	v_cndmask_b32_e32 v9, 1.0, v9, vcc
	v_cmp_class_f32_e64 vcc, v6, s5
	v_cndmask_b32_e32 v8, v8, v9, vcc
	v_cmp_eq_f32_e32 vcc, 0, v5
	v_cmp_gt_f32_e64 s[2:3], 0, v6
	s_xor_b64 s[2:3], s[2:3], vcc
	s_waitcnt vmcnt(0)
	v_cvt_f32_i32_e32 v7, v7
	v_cmp_class_f32_e64 s[20:21], v5, s5
	v_cndmask_b32_e64 v6, v10, 0, s[2:3]
	v_cndmask_b32_e64 v9, 0, v5, s[0:1]
	v_bfi_b32 v6, s13, v6, v9
	s_or_b64 vcc, vcc, s[20:21]
	v_cndmask_b32_e32 v6, v8, v6, vcc
	v_cmp_o_f32_e32 vcc, v5, v5
	v_cndmask_b32_e32 v5, v11, v6, vcc
	v_mul_f32_e32 v7, v5, v7
	v_cmp_eq_f32_e64 s[0:1], s17, 0
	v_mul_f32_e32 v5, s16, v7
	s_and_b64 vcc, exec, s[0:1]
	s_cbranch_vccnz .LBB18_9
; %bb.8:
	v_ashrrev_i32_e32 v6, 1, v1
	v_cvt_f32_i32_e32 v6, v6
	v_div_scale_f32 v9, s[0:1], s16, s16, 1.0
	v_mov_b32_e32 v8, s19
	v_sub_f32_e32 v8, s12, v8
	v_subrev_f32_e32 v6, s19, v6
	v_max_f32_e32 v8, 0x3a83126f, v8
	v_div_scale_f32 v10, s[0:1], v8, v8, v6
	v_div_scale_f32 v11, s[0:1], 1.0, s16, 1.0
	v_div_scale_f32 v12, vcc, v6, v8, v6
	s_mov_b32 s2, 0x3f317217
	v_rcp_f32_e32 v13, v9
	v_fma_f32 v14, -v9, v13, 1.0
	v_fmac_f32_e32 v13, v14, v13
	v_rcp_f32_e32 v14, v10
	v_mul_f32_e32 v15, v11, v13
	v_fma_f32 v16, -v9, v15, v11
	v_fmac_f32_e32 v15, v16, v13
	v_fma_f32 v9, -v9, v15, v11
	v_fma_f32 v11, -v10, v14, 1.0
	v_fmac_f32_e32 v14, v11, v14
	v_mul_f32_e32 v11, v12, v14
	v_fma_f32 v16, -v10, v11, v12
	v_fmac_f32_e32 v11, v16, v14
	v_fma_f32 v10, -v10, v11, v12
	v_div_fmas_f32 v10, v10, v14, v11
	s_mov_b64 vcc, s[0:1]
	v_div_fmas_f32 v9, v9, v13, v15
	s_mov_b32 s0, 0x800000
	v_mov_b32_e32 v11, 0x41b17218
	v_div_fixup_f32 v6, v10, v8, v6 clamp
	v_sub_f32_e32 v6, 1.0, v6
	v_div_fixup_f32 v8, v9, s16, 1.0
	v_cmp_gt_f32_e32 vcc, s0, v8
	s_and_b64 s[0:1], vcc, exec
	s_cselect_b32 s0, 32, 0
	v_ldexp_f32 v8, v8, s0
	v_log_f32_e32 v8, v8
	v_mul_f32_e32 v9, s17, v6
	v_fma_f32 v6, -s17, v6, 1.0
	v_mul_f32_e32 v5, v6, v5
	v_mul_f32_e32 v6, 0x3f317217, v8
	v_fma_f32 v6, v8, s2, -v6
	v_fmac_f32_e32 v6, 0x3377d1cf, v8
	v_cndmask_b32_e32 v10, 0, v11, vcc
	v_fmac_f32_e32 v6, 0x3f317217, v8
	v_cmp_lt_f32_e64 vcc, |v8|, s4
	v_cndmask_b32_e32 v6, v8, v6, vcc
	v_sub_f32_e32 v6, v6, v10
	s_mov_b32 s0, 0x3dcccccd
	v_fma_f32 v6, v6, s0, 1.0
	v_fmac_f32_e32 v5, v9, v7
	v_mul_f32_e32 v6, s18, v6
	s_branch .LBB18_10
.LBB18_9:
	v_mov_b32_e32 v6, s18
.LBB18_10:
	v_and_b32_e32 v7, 0x7fffffff, v5
	s_brev_b32 s0, 18
	v_cmp_nlt_f32_e64 s[12:13], |v5|, s0
	v_lshrrev_b32_e32 v10, 23, v7
                                        ; implicit-def: $vgpr9
                                        ; implicit-def: $vgpr8
	s_and_saveexec_b64 s[0:1], s[12:13]
	s_xor_b64 s[16:17], exec, s[0:1]
	s_cbranch_execz .LBB18_12
; %bb.11:
	v_and_b32_e32 v8, 0x7fffff, v7
	v_or_b32_e32 v19, 0x800000, v8
	s_mov_b32 s0, 0xfe5163ab
	v_mad_u64_u32 v[8:9], s[0:1], v19, s0, 0
	v_mov_b32_e32 v12, 0
	s_mov_b32 s0, 0x3c439041
	v_mov_b32_e32 v11, v9
	v_mad_u64_u32 v[13:14], s[0:1], v19, s0, v[11:12]
	s_mov_b32 s0, 0xdb629599
	v_add_u32_e32 v9, 0xffffff88, v10
	v_mov_b32_e32 v11, v14
	v_mad_u64_u32 v[14:15], s[0:1], v19, s0, v[11:12]
	s_mov_b32 s0, 0xf534ddc0
	v_not_b32_e32 v18, 63
	v_mov_b32_e32 v11, v15
	v_mad_u64_u32 v[15:16], s[0:1], v19, s0, v[11:12]
	s_mov_b32 s0, 0xfc2757d1
	v_cmp_lt_u32_e32 vcc, 63, v9
	v_mov_b32_e32 v11, v16
	v_mad_u64_u32 v[16:17], s[0:1], v19, s0, v[11:12]
	v_cndmask_b32_e32 v11, 0, v18, vcc
	v_add_u32_e32 v9, v11, v9
	v_mov_b32_e32 v11, v17
	s_mov_b32 s0, 0x4e441529
	v_mad_u64_u32 v[17:18], s[0:1], v19, s0, v[11:12]
	v_not_b32_e32 v20, 31
	v_cmp_lt_u32_e64 s[0:1], 31, v9
	v_cndmask_b32_e64 v11, 0, v20, s[0:1]
	v_add_u32_e32 v9, v11, v9
	v_mov_b32_e32 v11, v18
	s_mov_b32 s2, 0xa2f9836e
	v_mad_u64_u32 v[11:12], s[2:3], v19, s2, v[11:12]
	v_cmp_lt_u32_e64 s[2:3], 31, v9
	v_cndmask_b32_e64 v18, 0, v20, s[2:3]
	v_add_u32_e32 v9, v18, v9
	v_cndmask_b32_e32 v18, v17, v15, vcc
	v_cndmask_b32_e32 v11, v11, v16, vcc
	v_cndmask_b32_e32 v12, v12, v17, vcc
	v_cndmask_b32_e64 v19, v11, v18, s[0:1]
	v_cndmask_b32_e64 v11, v12, v11, s[0:1]
	v_cndmask_b32_e32 v12, v16, v14, vcc
	v_cndmask_b32_e64 v16, v18, v12, s[0:1]
	v_cndmask_b32_e64 v11, v11, v19, s[2:3]
	;; [unrolled: 1-line block ×3, first 2 shown]
	v_sub_u32_e32 v18, 32, v9
	v_alignbit_b32 v19, v11, v17, v18
	v_cmp_eq_u32_e64 s[4:5], 0, v9
	v_cndmask_b32_e64 v9, v19, v11, s[4:5]
	v_cndmask_b32_e32 v11, v15, v13, vcc
	v_cndmask_b32_e64 v12, v12, v11, s[0:1]
	v_cndmask_b32_e64 v13, v16, v12, s[2:3]
	v_alignbit_b32 v15, v17, v13, v18
	v_cndmask_b32_e32 v8, v14, v8, vcc
	v_cndmask_b32_e64 v15, v15, v17, s[4:5]
	v_bfe_u32 v19, v9, 29, 1
	v_cndmask_b32_e64 v8, v11, v8, s[0:1]
	v_alignbit_b32 v16, v9, v15, 30
	v_sub_u32_e32 v20, 0, v19
	v_cndmask_b32_e64 v8, v12, v8, s[2:3]
	v_xor_b32_e32 v16, v16, v20
	v_alignbit_b32 v11, v13, v8, v18
	v_cndmask_b32_e64 v11, v11, v13, s[4:5]
	v_ffbh_u32_e32 v13, v16
	v_alignbit_b32 v12, v15, v11, 30
	v_min_u32_e32 v13, 32, v13
	v_alignbit_b32 v8, v11, v8, 30
	v_xor_b32_e32 v12, v12, v20
	v_sub_u32_e32 v14, 31, v13
	v_xor_b32_e32 v8, v8, v20
	v_alignbit_b32 v15, v16, v12, v14
	v_alignbit_b32 v8, v12, v8, v14
	;; [unrolled: 1-line block ×3, first 2 shown]
	v_ffbh_u32_e32 v12, v11
	v_min_u32_e32 v12, 32, v12
	v_lshrrev_b32_e32 v17, 29, v9
	v_not_b32_e32 v14, v12
	v_alignbit_b32 v8, v11, v8, v14
	v_lshlrev_b32_e32 v11, 31, v17
	v_or_b32_e32 v14, 0x33000000, v11
	v_add_lshl_u32 v12, v12, v13, 23
	v_lshrrev_b32_e32 v8, 9, v8
	v_sub_u32_e32 v12, v14, v12
	v_or_b32_e32 v11, 0.5, v11
	v_lshlrev_b32_e32 v13, 23, v13
	v_or_b32_e32 v8, v12, v8
	v_lshrrev_b32_e32 v12, 9, v15
	v_sub_u32_e32 v11, v11, v13
	v_or_b32_e32 v11, v12, v11
	s_mov_b32 s0, 0x3fc90fda
	v_mul_f32_e32 v12, 0x3fc90fda, v11
	v_fma_f32 v13, v11, s0, -v12
	v_fmac_f32_e32 v13, 0x33a22168, v11
	v_fmac_f32_e32 v13, 0x3fc90fda, v8
	v_lshrrev_b32_e32 v9, 30, v9
	v_add_f32_e32 v8, v12, v13
	v_add_u32_e32 v9, v19, v9
	s_andn2_saveexec_b64 s[0:1], s[16:17]
	s_cbranch_execz .LBB18_14
	s_branch .LBB18_13
.LBB18_12:
	s_andn2_saveexec_b64 s[0:1], s[16:17]
	s_cbranch_execz .LBB18_14
.LBB18_13:
	s_mov_b32 s2, 0x3f22f983
	v_mul_f32_e64 v8, |v5|, s2
	v_rndne_f32_e32 v11, v8
	s_mov_b32 s2, 0xbfc90fda
	v_cvt_i32_f32_e32 v9, v11
	v_fma_f32 v8, v11, s2, |v5|
	v_fmac_f32_e32 v8, 0xb3a22168, v11
	v_fmac_f32_e32 v8, 0xa7c234c4, v11
.LBB18_14:
	s_or_b64 exec, exec, s[0:1]
                                        ; implicit-def: $vgpr12
                                        ; implicit-def: $vgpr11
	s_and_saveexec_b64 s[0:1], s[12:13]
	s_xor_b64 s[12:13], exec, s[0:1]
	s_cbranch_execz .LBB18_16
; %bb.15:
	v_and_b32_e32 v11, 0x7fffff, v7
	v_or_b32_e32 v20, 0x800000, v11
	s_mov_b32 s0, 0xfe5163ab
	v_mad_u64_u32 v[11:12], s[0:1], v20, s0, 0
	v_mov_b32_e32 v13, 0
	s_mov_b32 s0, 0x3c439041
	v_mad_u64_u32 v[14:15], s[0:1], v20, s0, v[12:13]
	s_mov_b32 s0, 0xdb629599
	v_add_u32_e32 v10, 0xffffff88, v10
	v_mov_b32_e32 v12, v15
	v_mad_u64_u32 v[15:16], s[0:1], v20, s0, v[12:13]
	s_mov_b32 s0, 0xf534ddc0
	v_not_b32_e32 v19, 63
	v_mov_b32_e32 v12, v16
	v_mad_u64_u32 v[16:17], s[0:1], v20, s0, v[12:13]
	s_mov_b32 s0, 0xfc2757d1
	v_cmp_lt_u32_e32 vcc, 63, v10
	v_mov_b32_e32 v12, v17
	v_mad_u64_u32 v[17:18], s[0:1], v20, s0, v[12:13]
	v_cndmask_b32_e32 v12, 0, v19, vcc
	v_add_u32_e32 v10, v12, v10
	v_mov_b32_e32 v12, v18
	s_mov_b32 s0, 0x4e441529
	v_mad_u64_u32 v[18:19], s[0:1], v20, s0, v[12:13]
	v_not_b32_e32 v21, 31
	v_cmp_lt_u32_e64 s[0:1], 31, v10
	v_cndmask_b32_e64 v12, 0, v21, s[0:1]
	v_add_u32_e32 v10, v12, v10
	v_mov_b32_e32 v12, v19
	s_mov_b32 s2, 0xa2f9836e
	v_mad_u64_u32 v[12:13], s[2:3], v20, s2, v[12:13]
	v_cmp_lt_u32_e64 s[2:3], 31, v10
	v_cndmask_b32_e64 v19, 0, v21, s[2:3]
	v_add_u32_e32 v10, v19, v10
	v_cndmask_b32_e32 v19, v18, v16, vcc
	v_cndmask_b32_e32 v12, v12, v17, vcc
	;; [unrolled: 1-line block ×3, first 2 shown]
	v_cndmask_b32_e64 v20, v12, v19, s[0:1]
	v_cndmask_b32_e64 v12, v13, v12, s[0:1]
	v_cndmask_b32_e32 v13, v17, v15, vcc
	v_cndmask_b32_e64 v17, v19, v13, s[0:1]
	v_cndmask_b32_e64 v12, v12, v20, s[2:3]
	v_cndmask_b32_e64 v18, v20, v17, s[2:3]
	v_sub_u32_e32 v19, 32, v10
	v_alignbit_b32 v20, v12, v18, v19
	v_cmp_eq_u32_e64 s[4:5], 0, v10
	v_cndmask_b32_e64 v10, v20, v12, s[4:5]
	v_cndmask_b32_e32 v12, v16, v14, vcc
	v_cndmask_b32_e64 v13, v13, v12, s[0:1]
	v_cndmask_b32_e64 v14, v17, v13, s[2:3]
	v_alignbit_b32 v16, v18, v14, v19
	v_cndmask_b32_e32 v11, v15, v11, vcc
	v_cndmask_b32_e64 v16, v16, v18, s[4:5]
	v_bfe_u32 v20, v10, 29, 1
	v_cndmask_b32_e64 v11, v12, v11, s[0:1]
	v_alignbit_b32 v17, v10, v16, 30
	v_sub_u32_e32 v21, 0, v20
	v_cndmask_b32_e64 v11, v13, v11, s[2:3]
	v_xor_b32_e32 v17, v17, v21
	v_alignbit_b32 v12, v14, v11, v19
	v_cndmask_b32_e64 v12, v12, v14, s[4:5]
	v_ffbh_u32_e32 v14, v17
	v_alignbit_b32 v13, v16, v12, 30
	v_min_u32_e32 v14, 32, v14
	v_alignbit_b32 v11, v12, v11, 30
	v_xor_b32_e32 v13, v13, v21
	v_sub_u32_e32 v15, 31, v14
	v_xor_b32_e32 v11, v11, v21
	v_alignbit_b32 v16, v17, v13, v15
	v_alignbit_b32 v11, v13, v11, v15
	;; [unrolled: 1-line block ×3, first 2 shown]
	v_ffbh_u32_e32 v13, v12
	v_min_u32_e32 v13, 32, v13
	v_lshrrev_b32_e32 v18, 29, v10
	v_not_b32_e32 v15, v13
	v_alignbit_b32 v11, v12, v11, v15
	v_lshlrev_b32_e32 v12, 31, v18
	v_or_b32_e32 v15, 0x33000000, v12
	v_add_lshl_u32 v13, v13, v14, 23
	v_lshrrev_b32_e32 v11, 9, v11
	v_sub_u32_e32 v13, v15, v13
	v_or_b32_e32 v12, 0.5, v12
	v_lshlrev_b32_e32 v14, 23, v14
	v_or_b32_e32 v11, v13, v11
	v_lshrrev_b32_e32 v13, 9, v16
	v_sub_u32_e32 v12, v12, v14
	v_or_b32_e32 v12, v13, v12
	s_mov_b32 s0, 0x3fc90fda
	v_mul_f32_e32 v13, 0x3fc90fda, v12
	v_fma_f32 v14, v12, s0, -v13
	v_fmac_f32_e32 v14, 0x33a22168, v12
	v_fmac_f32_e32 v14, 0x3fc90fda, v11
	v_lshrrev_b32_e32 v10, 30, v10
	v_add_f32_e32 v11, v13, v14
	v_add_u32_e32 v12, v20, v10
	s_andn2_saveexec_b64 s[0:1], s[12:13]
	s_cbranch_execnz .LBB18_17
	s_branch .LBB18_18
.LBB18_16:
	s_andn2_saveexec_b64 s[0:1], s[12:13]
	s_cbranch_execz .LBB18_18
.LBB18_17:
	s_mov_b32 s2, 0x3f22f983
	v_mul_f32_e64 v10, |v5|, s2
	v_rndne_f32_e32 v10, v10
	s_mov_b32 s2, 0xbfc90fda
	v_cvt_i32_f32_e32 v12, v10
	v_fma_f32 v11, v10, s2, |v5|
	v_fmac_f32_e32 v11, 0xb3a22168, v10
	v_fmac_f32_e32 v11, 0xa7c234c4, v10
.LBB18_18:
	s_or_b64 exec, exec, s[0:1]
	v_lshlrev_b64 v[3:4], 1, v[3:4]
	v_mov_b32_e32 v10, s9
	v_add_co_u32_e32 v3, vcc, s8, v3
	v_addc_co_u32_e32 v4, vcc, v10, v4, vcc
	global_load_dword v3, v[3:4], off
	v_mul_f32_e32 v4, v8, v8
	v_mov_b32_e32 v13, 0x3c0881c4
	v_mov_b32_e32 v16, 0xbab64f3b
	;; [unrolled: 1-line block ×6, first 2 shown]
	v_mul_f32_e32 v21, v11, v11
	v_and_b32_e32 v22, 1, v12
	v_lshlrev_b32_e32 v12, 30, v12
	v_fmac_f32_e32 v13, 0xb94c1982, v4
	v_fmac_f32_e32 v16, 0x37d75334, v4
	v_mov_b32_e32 v18, 0xbf000004
	v_xor_b32_e32 v7, v7, v5
	v_fmac_f32_e32 v10, 0xb94c1982, v21
	v_fmac_f32_e32 v15, 0x37d75334, v21
	v_and_b32_e32 v12, 0x80000000, v12
	v_fma_f32 v13, v4, v13, v14
	v_fma_f32 v16, v4, v16, v17
	v_and_b32_e32 v19, 1, v9
	v_fmac_f32_e32 v14, v21, v10
	v_fmac_f32_e32 v17, v21, v15
	v_xor_b32_e32 v7, v7, v12
	v_mul_f32_e32 v10, v4, v13
	v_fma_f32 v12, v4, v16, v18
	v_mul_f32_e32 v13, v21, v14
	v_fmac_f32_e32 v18, v21, v17
	v_fmac_f32_e32 v8, v8, v10
	v_fma_f32 v4, v4, v12, 1.0
	v_cmp_eq_u32_e32 vcc, 0, v19
	v_fmac_f32_e32 v11, v11, v13
	v_fma_f32 v10, v21, v18, 1.0
	v_cndmask_b32_e64 v4, -v8, v4, vcc
	v_cmp_eq_u32_e32 vcc, 0, v22
	s_movk_i32 s0, 0x1f8
	v_cndmask_b32_e32 v8, v10, v11, vcc
	v_mov_b32_e32 v20, 0x7fc00000
	v_xor_b32_e32 v7, v7, v8
	v_cmp_class_f32_e64 vcc, v5, s0
	v_lshlrev_b32_e32 v9, 30, v9
	v_cndmask_b32_e32 v5, v20, v7, vcc
	v_and_b32_e32 v9, 0x80000000, v9
	v_xor_b32_e32 v4, v9, v4
	v_cndmask_b32_e32 v4, v20, v4, vcc
	v_mul_f32_e32 v5, v6, v5
	v_mul_f32_e32 v4, v6, v4
	s_waitcnt vmcnt(0)
	v_cvt_f32_f16_sdwa v7, v3 dst_sel:DWORD dst_unused:UNUSED_PAD src0_sel:WORD_1
	v_cvt_f32_f16_e32 v8, v3
	v_mul_f32_e32 v6, v5, v7
	v_mul_f32_e32 v5, v5, v8
	v_fma_mixlo_f16 v6, v4, v3, -v6 op_sel_hi:[0,1,0]
	v_fma_mixlo_f16 v3, v4, v3, v5 op_sel:[0,1,0] op_sel_hi:[0,1,0]
	v_lshlrev_b32_e32 v3, 16, v3
	v_or_b32_sdwa v6, v3, v6 dst_sel:DWORD dst_unused:UNUSED_PAD src0_sel:DWORD src1_sel:WORD_0
.LBB18_19:
	s_or_b64 exec, exec, s[6:7]
	v_mul_lo_u32 v0, v0, s14
	s_waitcnt lgkmcnt(0)
	v_mov_b32_e32 v3, s11
	v_add3_u32 v0, v0, v1, v2
	v_ashrrev_i32_e32 v1, 31, v0
	v_lshlrev_b64 v[0:1], 1, v[0:1]
	v_add_co_u32_e32 v0, vcc, s10, v0
	v_addc_co_u32_e32 v1, vcc, v3, v1, vcc
	s_waitcnt vmcnt(0)
	global_store_dword v[0:1], v6, off
.LBB18_20:
	s_endpgm
	.section	.rodata,"a",@progbits
	.p2align	6, 0x0
	.amdhsa_kernel _ZL9rope_normILb1ELb0E6__halfS0_EvPKT1_PT2_iiiiiiiiiiPKifff14rope_corr_dimsfPKfPKli
		.amdhsa_group_segment_fixed_size 0
		.amdhsa_private_segment_fixed_size 0
		.amdhsa_kernarg_size 368
		.amdhsa_user_sgpr_count 6
		.amdhsa_user_sgpr_private_segment_buffer 1
		.amdhsa_user_sgpr_dispatch_ptr 0
		.amdhsa_user_sgpr_queue_ptr 0
		.amdhsa_user_sgpr_kernarg_segment_ptr 1
		.amdhsa_user_sgpr_dispatch_id 0
		.amdhsa_user_sgpr_flat_scratch_init 0
		.amdhsa_user_sgpr_private_segment_size 0
		.amdhsa_uses_dynamic_stack 0
		.amdhsa_system_sgpr_private_segment_wavefront_offset 0
		.amdhsa_system_sgpr_workgroup_id_x 1
		.amdhsa_system_sgpr_workgroup_id_y 1
		.amdhsa_system_sgpr_workgroup_id_z 0
		.amdhsa_system_sgpr_workgroup_info 0
		.amdhsa_system_vgpr_workitem_id 1
		.amdhsa_next_free_vgpr 23
		.amdhsa_next_free_sgpr 22
		.amdhsa_reserve_vcc 1
		.amdhsa_reserve_flat_scratch 0
		.amdhsa_float_round_mode_32 0
		.amdhsa_float_round_mode_16_64 0
		.amdhsa_float_denorm_mode_32 3
		.amdhsa_float_denorm_mode_16_64 3
		.amdhsa_dx10_clamp 1
		.amdhsa_ieee_mode 1
		.amdhsa_fp16_overflow 0
		.amdhsa_exception_fp_ieee_invalid_op 0
		.amdhsa_exception_fp_denorm_src 0
		.amdhsa_exception_fp_ieee_div_zero 0
		.amdhsa_exception_fp_ieee_overflow 0
		.amdhsa_exception_fp_ieee_underflow 0
		.amdhsa_exception_fp_ieee_inexact 0
		.amdhsa_exception_int_div_zero 0
	.end_amdhsa_kernel
	.section	.text._ZL9rope_normILb1ELb0E6__halfS0_EvPKT1_PT2_iiiiiiiiiiPKifff14rope_corr_dimsfPKfPKli,"axG",@progbits,_ZL9rope_normILb1ELb0E6__halfS0_EvPKT1_PT2_iiiiiiiiiiPKifff14rope_corr_dimsfPKfPKli,comdat
.Lfunc_end18:
	.size	_ZL9rope_normILb1ELb0E6__halfS0_EvPKT1_PT2_iiiiiiiiiiPKifff14rope_corr_dimsfPKfPKli, .Lfunc_end18-_ZL9rope_normILb1ELb0E6__halfS0_EvPKT1_PT2_iiiiiiiiiiPKifff14rope_corr_dimsfPKfPKli
                                        ; -- End function
	.set _ZL9rope_normILb1ELb0E6__halfS0_EvPKT1_PT2_iiiiiiiiiiPKifff14rope_corr_dimsfPKfPKli.num_vgpr, 23
	.set _ZL9rope_normILb1ELb0E6__halfS0_EvPKT1_PT2_iiiiiiiiiiPKifff14rope_corr_dimsfPKfPKli.num_agpr, 0
	.set _ZL9rope_normILb1ELb0E6__halfS0_EvPKT1_PT2_iiiiiiiiiiPKifff14rope_corr_dimsfPKfPKli.numbered_sgpr, 22
	.set _ZL9rope_normILb1ELb0E6__halfS0_EvPKT1_PT2_iiiiiiiiiiPKifff14rope_corr_dimsfPKfPKli.num_named_barrier, 0
	.set _ZL9rope_normILb1ELb0E6__halfS0_EvPKT1_PT2_iiiiiiiiiiPKifff14rope_corr_dimsfPKfPKli.private_seg_size, 0
	.set _ZL9rope_normILb1ELb0E6__halfS0_EvPKT1_PT2_iiiiiiiiiiPKifff14rope_corr_dimsfPKfPKli.uses_vcc, 1
	.set _ZL9rope_normILb1ELb0E6__halfS0_EvPKT1_PT2_iiiiiiiiiiPKifff14rope_corr_dimsfPKfPKli.uses_flat_scratch, 0
	.set _ZL9rope_normILb1ELb0E6__halfS0_EvPKT1_PT2_iiiiiiiiiiPKifff14rope_corr_dimsfPKfPKli.has_dyn_sized_stack, 0
	.set _ZL9rope_normILb1ELb0E6__halfS0_EvPKT1_PT2_iiiiiiiiiiPKifff14rope_corr_dimsfPKfPKli.has_recursion, 0
	.set _ZL9rope_normILb1ELb0E6__halfS0_EvPKT1_PT2_iiiiiiiiiiPKifff14rope_corr_dimsfPKfPKli.has_indirect_call, 0
	.section	.AMDGPU.csdata,"",@progbits
; Kernel info:
; codeLenInByte = 3700
; TotalNumSgprs: 26
; NumVgprs: 23
; ScratchSize: 0
; MemoryBound: 0
; FloatMode: 240
; IeeeMode: 1
; LDSByteSize: 0 bytes/workgroup (compile time only)
; SGPRBlocks: 3
; VGPRBlocks: 5
; NumSGPRsForWavesPerEU: 26
; NumVGPRsForWavesPerEU: 23
; Occupancy: 10
; WaveLimiterHint : 0
; COMPUTE_PGM_RSRC2:SCRATCH_EN: 0
; COMPUTE_PGM_RSRC2:USER_SGPR: 6
; COMPUTE_PGM_RSRC2:TRAP_HANDLER: 0
; COMPUTE_PGM_RSRC2:TGID_X_EN: 1
; COMPUTE_PGM_RSRC2:TGID_Y_EN: 1
; COMPUTE_PGM_RSRC2:TGID_Z_EN: 0
; COMPUTE_PGM_RSRC2:TIDIG_COMP_CNT: 1
	.section	.text._ZL9rope_normILb1ELb1E6__halfS0_EvPKT1_PT2_iiiiiiiiiiPKifff14rope_corr_dimsfPKfPKli,"axG",@progbits,_ZL9rope_normILb1ELb1E6__halfS0_EvPKT1_PT2_iiiiiiiiiiPKifff14rope_corr_dimsfPKfPKli,comdat
	.globl	_ZL9rope_normILb1ELb1E6__halfS0_EvPKT1_PT2_iiiiiiiiiiPKifff14rope_corr_dimsfPKfPKli ; -- Begin function _ZL9rope_normILb1ELb1E6__halfS0_EvPKT1_PT2_iiiiiiiiiiPKifff14rope_corr_dimsfPKfPKli
	.p2align	8
	.type	_ZL9rope_normILb1ELb1E6__halfS0_EvPKT1_PT2_iiiiiiiiiiPKifff14rope_corr_dimsfPKfPKli,@function
_ZL9rope_normILb1ELb1E6__halfS0_EvPKT1_PT2_iiiiiiiiiiPKifff14rope_corr_dimsfPKfPKli: ; @_ZL9rope_normILb1ELb1E6__halfS0_EvPKT1_PT2_iiiiiiiiiiPKifff14rope_corr_dimsfPKfPKli
; %bb.0:
	s_load_dword s2, s[4:5], 0x7c
	s_load_dwordx8 s[8:15], s[4:5], 0x10
	s_add_u32 s0, s4, 0x70
	s_addc_u32 s1, s5, 0
	s_waitcnt lgkmcnt(0)
	s_lshr_b32 s2, s2, 16
	s_mul_i32 s7, s7, s2
	v_add_lshl_u32 v1, s7, v1, 1
	v_cmp_gt_i32_e32 vcc, s8, v1
	s_and_saveexec_b64 s[2:3], vcc
	s_cbranch_execz .LBB19_20
; %bb.1:
	s_mul_i32 s2, s10, s9
	s_abs_i32 s3, s2
	v_cvt_f32_u32_e32 v2, s3
	s_load_dword s0, s[0:1], 0xc
	s_sub_i32 s1, 0, s3
	v_cvt_f32_u32_e32 v3, s9
	v_rcp_iflag_f32_e32 v2, v2
	s_load_dword s8, s[4:5], 0x68
	s_waitcnt lgkmcnt(0)
	s_and_b32 s0, s0, 0xffff
	s_mul_i32 s6, s6, s0
	v_mul_f32_e32 v2, 0x4f7ffffe, v2
	v_cvt_u32_f32_e32 v2, v2
	v_add_u32_e32 v5, s6, v0
	v_sub_u32_e32 v0, 0, v5
	v_max_i32_e32 v0, v5, v0
	v_mul_lo_u32 v4, s1, v2
	v_rcp_iflag_f32_e32 v3, v3
	s_sub_i32 s0, 0, s9
	v_xor_b32_e32 v6, s2, v5
	v_mul_hi_u32 v4, v2, v4
	v_mul_f32_e32 v3, 0x4f7ffffe, v3
	v_cvt_u32_f32_e32 v3, v3
	v_ashrrev_i32_e32 v6, 31, v6
	v_add_u32_e32 v2, v2, v4
	v_mul_hi_u32 v2, v0, v2
	v_mul_lo_u32 v4, s0, v3
	s_cmp_eq_u32 s8, 0
	v_mul_lo_u32 v7, v2, s3
	v_add_u32_e32 v8, 1, v2
	v_mul_hi_u32 v4, v3, v4
	v_sub_u32_e32 v0, v0, v7
	v_cmp_le_u32_e32 vcc, s3, v0
	v_subrev_u32_e32 v7, s3, v0
	v_cndmask_b32_e32 v2, v2, v8, vcc
	v_cndmask_b32_e32 v0, v0, v7, vcc
	v_add_u32_e32 v7, 1, v2
	v_cmp_le_u32_e32 vcc, s3, v0
	v_cndmask_b32_e32 v0, v2, v7, vcc
	v_xor_b32_e32 v0, v0, v6
	v_sub_u32_e32 v0, v0, v6
	v_mul_lo_u32 v2, s2, v0
	v_add_u32_e32 v3, v3, v4
	s_load_dwordx2 s[6:7], s[4:5], 0x30
	s_load_dwordx4 s[0:3], s[4:5], 0x58
	v_sub_u32_e32 v4, v5, v2
	v_mul_hi_u32 v2, v4, v3
	v_mul_lo_u32 v3, v2, s9
	v_add_u32_e32 v5, 1, v2
	v_sub_u32_e32 v3, v4, v3
	v_cmp_le_u32_e32 vcc, s9, v3
	v_cndmask_b32_e32 v2, v2, v5, vcc
	v_subrev_u32_e32 v5, s9, v3
	v_cndmask_b32_e32 v3, v3, v5, vcc
	v_add_u32_e32 v5, 1, v2
	v_cmp_le_u32_e32 vcc, s9, v3
	v_cndmask_b32_e32 v5, v2, v5, vcc
	s_cbranch_scc1 .LBB19_3
; %bb.2:
	v_mov_b32_e32 v6, 0
	v_lshlrev_b64 v[2:3], 3, v[5:6]
	s_waitcnt lgkmcnt(0)
	v_mov_b32_e32 v6, s3
	v_add_co_u32_e32 v2, vcc, s2, v2
	v_addc_co_u32_e32 v3, vcc, v6, v3, vcc
	global_load_dword v2, v[2:3], off
	s_waitcnt vmcnt(0)
	v_mul_lo_u32 v2, s8, v2
	s_branch .LBB19_4
.LBB19_3:
	s_waitcnt lgkmcnt(0)
	v_mul_lo_u32 v2, v0, s6
	v_mad_u64_u32 v[2:3], s[2:3], v5, s15, v[2:3]
.LBB19_4:
	v_mul_lo_u32 v3, v5, s9
	v_mad_u64_u32 v[6:7], s[2:3], v0, s13, v[1:2]
	v_mul_lo_u32 v8, v5, s12
	v_sub_u32_e32 v0, v4, v3
	v_mul_lo_u32 v3, v0, s11
	s_load_dwordx4 s[8:11], s[4:5], 0x0
	v_cmp_le_i32_e32 vcc, s7, v1
	v_add3_u32 v3, v6, v8, v3
	v_ashrrev_i32_e32 v4, 31, v3
                                        ; implicit-def: $vgpr6
	s_and_saveexec_b64 s[2:3], vcc
	s_xor_b64 s[2:3], exec, s[2:3]
	s_cbranch_execz .LBB19_6
; %bb.5:
	v_lshlrev_b64 v[3:4], 1, v[3:4]
	s_waitcnt lgkmcnt(0)
	v_mov_b32_e32 v5, s9
	v_add_co_u32_e32 v3, vcc, s8, v3
	v_addc_co_u32_e32 v4, vcc, v5, v4, vcc
	global_load_dword v6, v[3:4], off
                                        ; implicit-def: $vgpr3
                                        ; implicit-def: $vgpr5
.LBB19_6:
	s_andn2_saveexec_b64 s[12:13], s[2:3]
	s_cbranch_execz .LBB19_19
; %bb.7:
	s_load_dwordx2 s[2:3], s[4:5], 0x38
	s_load_dwordx2 s[16:17], s[4:5], 0x50
	s_waitcnt vmcnt(0)
	v_mov_b32_e32 v6, 0
	v_lshlrev_b64 v[5:6], 2, v[5:6]
	v_mov_b32_e32 v11, 0x3e91f4c4
	s_waitcnt lgkmcnt(0)
	v_mov_b32_e32 v7, s3
	v_add_co_u32_e32 v5, vcc, s2, v5
	v_addc_co_u32_e32 v6, vcc, v7, v6, vcc
	global_load_dword v5, v[5:6], off
	v_cvt_f32_i32_e32 v6, v1
	v_cmp_neq_f32_e64 vcc, s17, 1.0
	s_mov_b32 s2, 0x3f2aaaab
	v_mov_b32_e32 v12, 0x3ecccdef
	v_mul_f32_e32 v6, 0.5, v6
	v_cndmask_b32_e32 v8, 1.0, v6, vcc
	v_mov_b32_e32 v6, s17
	v_cmp_neq_f32_e32 vcc, 0, v8
	v_cndmask_b32_e32 v7, 1.0, v6, vcc
	v_frexp_mant_f32_e64 v6, |v7|
	v_cmp_gt_f32_e32 vcc, s2, v6
	v_cvt_f64_f32_e64 v[9:10], |v7|
	v_cndmask_b32_e64 v13, 1.0, 2.0, vcc
	v_mul_f32_e32 v6, v6, v13
	v_add_f32_e32 v14, 1.0, v6
	v_rcp_f32_e32 v15, v14
	v_frexp_exp_i32_f64_e32 v9, v[9:10]
	v_add_f32_e32 v13, -1.0, v6
	v_add_f32_e32 v16, -1.0, v14
	v_mul_f32_e32 v10, v13, v15
	v_sub_f32_e32 v6, v6, v16
	v_mul_f32_e32 v16, v14, v10
	v_fma_f32 v14, v10, v14, -v16
	v_fmac_f32_e32 v14, v10, v6
	v_add_f32_e32 v6, v16, v14
	v_subbrev_co_u32_e32 v9, vcc, 0, v9, vcc
	v_sub_f32_e32 v17, v13, v6
	v_sub_f32_e32 v16, v6, v16
	v_cvt_f32_i32_e32 v18, v9
	v_sub_f32_e32 v9, v13, v17
	v_sub_f32_e32 v13, v16, v14
	v_sub_f32_e32 v6, v9, v6
	v_add_f32_e32 v6, v13, v6
	v_add_f32_e32 v6, v17, v6
	v_mul_f32_e32 v6, v15, v6
	v_add_f32_e32 v15, v10, v6
	v_sub_f32_e32 v9, v15, v10
	v_mul_f32_e32 v10, v15, v15
	v_sub_f32_e32 v6, v6, v9
	v_fma_f32 v9, v15, v15, -v10
	v_add_f32_e32 v16, v6, v6
	v_fmac_f32_e32 v9, v15, v16
	v_add_f32_e32 v16, v10, v9
	v_fmac_f32_e32 v11, 0x3e76c4e1, v16
	v_sub_f32_e32 v10, v16, v10
	v_mul_f32_e32 v17, v15, v16
	v_fmac_f32_e32 v12, v16, v11
	v_sub_f32_e32 v9, v9, v10
	v_fma_f32 v10, v16, v15, -v17
	v_fmac_f32_e32 v10, v16, v6
	v_mul_f32_e32 v11, v16, v12
	v_fmac_f32_e32 v10, v9, v15
	v_fma_f32 v16, v16, v12, -v11
	v_add_f32_e32 v19, v17, v10
	v_fmac_f32_e32 v16, v9, v12
	v_sub_f32_e32 v9, v19, v17
	v_add_f32_e32 v12, v11, v16
	v_sub_f32_e32 v9, v10, v9
	v_add_f32_e32 v10, 0x3f2aaaaa, v12
	v_sub_f32_e32 v11, v12, v11
	v_sub_f32_e32 v11, v16, v11
	v_add_f32_e32 v16, 0xbf2aaaaa, v10
	v_add_f32_e32 v11, 0x31739010, v11
	v_sub_f32_e32 v12, v12, v16
	v_add_f32_e32 v11, v11, v12
	v_add_f32_e32 v12, v10, v11
	s_mov_b32 s3, 0x3f317218
	v_mul_f32_e32 v13, 0x3f317218, v18
	v_sub_f32_e32 v10, v10, v12
	v_mul_f32_e32 v16, v19, v12
	v_fma_f32 v14, v18, s3, -v13
	v_add_f32_e32 v10, v11, v10
	v_fma_f32 v11, v19, v12, -v16
	v_fmac_f32_e32 v11, v19, v10
	v_fmac_f32_e32 v14, 0xb102e308, v18
	;; [unrolled: 1-line block ×3, first 2 shown]
	v_add_f32_e32 v10, v13, v14
	v_sub_f32_e32 v12, v10, v13
	v_add_f32_e32 v13, v16, v11
	s_waitcnt vmcnt(0)
	v_cvt_f32_i32_e32 v9, v5
	v_ldexp_f32 v5, v6, 1
	v_ldexp_f32 v6, v15, 1
	v_sub_f32_e32 v12, v14, v12
	v_sub_f32_e32 v14, v13, v16
	;; [unrolled: 1-line block ×3, first 2 shown]
	v_add_f32_e32 v14, v6, v13
	v_sub_f32_e32 v6, v14, v6
	v_sub_f32_e32 v6, v13, v6
	v_add_f32_e32 v5, v5, v11
	v_add_f32_e32 v5, v5, v6
	;; [unrolled: 1-line block ×3, first 2 shown]
	v_sub_f32_e32 v11, v6, v14
	v_add_f32_e32 v13, v10, v6
	v_sub_f32_e32 v5, v5, v11
	v_sub_f32_e32 v11, v13, v10
	;; [unrolled: 1-line block ×5, first 2 shown]
	v_add_f32_e32 v15, v12, v5
	v_add_f32_e32 v14, v6, v10
	v_sub_f32_e32 v6, v15, v12
	v_sub_f32_e32 v10, v15, v6
	;; [unrolled: 1-line block ×4, first 2 shown]
	v_add_f32_e32 v12, v5, v10
	v_ashrrev_i32_e32 v5, 1, v1
	v_ashrrev_i32_e32 v6, 31, v5
	v_lshlrev_b64 v[10:11], 2, v[5:6]
	v_mov_b32_e32 v6, s1
	v_add_co_u32_e32 v10, vcc, s0, v10
	v_addc_co_u32_e32 v11, vcc, v6, v11, vcc
	global_load_dword v6, v[10:11], off
	v_add_f32_e32 v10, v15, v14
	v_add_f32_e32 v11, v13, v10
	v_sub_f32_e32 v13, v11, v13
	v_sub_f32_e32 v10, v10, v13
	v_add_f32_e32 v10, v12, v10
	v_add_f32_e32 v12, v11, v10
	v_sub_f32_e32 v11, v12, v11
	v_sub_f32_e32 v10, v10, v11
	v_mul_f32_e32 v11, v8, v12
	v_fma_f32 v12, v8, v12, -v11
	v_fmac_f32_e32 v12, v8, v10
	s_movk_i32 s17, 0x204
	v_add_f32_e32 v10, v11, v12
	v_cmp_class_f32_e64 vcc, v11, s17
	v_sub_f32_e32 v13, v10, v11
	v_cndmask_b32_e32 v10, v10, v11, vcc
	s_mov_b32 s0, 0x42b17218
	v_mov_b32_e32 v11, 0x37000000
	v_cmp_eq_f32_e32 vcc, s0, v10
	v_cndmask_b32_e32 v11, 0, v11, vcc
	v_sub_f32_e32 v12, v12, v13
	v_sub_f32_e32 v13, v10, v11
	s_mov_b32 s1, 0x3fb8aa3b
	v_mul_f32_e32 v14, 0x3fb8aa3b, v13
	v_fma_f32 v15, v13, s1, -v14
	v_rndne_f32_e32 v16, v14
	v_fmac_f32_e32 v15, 0x32a5705f, v13
	v_sub_f32_e32 v14, v14, v16
	v_add_f32_e32 v14, v14, v15
	v_exp_f32_e32 v14, v14
	v_cvt_i32_f32_e32 v15, v16
	s_mov_b32 s15, 0x7f800000
	v_cmp_neq_f32_e64 vcc, |v10|, s15
	v_cndmask_b32_e32 v10, 0, v12, vcc
	s_mov_b32 s1, 0xc2ce8ed0
	v_add_f32_e32 v10, v11, v10
	v_ldexp_f32 v11, v14, v15
	v_cmp_ngt_f32_e32 vcc, s1, v13
	v_cndmask_b32_e32 v11, 0, v11, vcc
	v_mov_b32_e32 v12, 0x7f800000
	v_cmp_nlt_f32_e32 vcc, s0, v13
	v_cndmask_b32_e32 v11, v12, v11, vcc
	v_fma_f32 v10, v11, v10, v11
	v_cmp_class_f32_e64 vcc, v11, s17
	v_cndmask_b32_e32 v10, v10, v11, vcc
	v_trunc_f32_e32 v11, v8
	v_cmp_eq_f32_e32 vcc, v11, v8
	v_mul_f32_e32 v11, 0.5, v8
	v_trunc_f32_e32 v14, v11
	v_cmp_neq_f32_e64 s[0:1], v14, v11
	s_and_b64 s[0:1], vcc, s[0:1]
	v_cndmask_b32_e64 v11, 1.0, v7, s[0:1]
	s_brev_b32 s18, -2
	v_mov_b32_e32 v13, 0x7fc00000
	v_bfi_b32 v10, s18, v10, v11
	v_cmp_neq_f32_e64 s[2:3], v8, |v8|
	v_cmp_lt_f32_e64 s[6:7], |v7|, 1.0
	v_cndmask_b32_e32 v11, v13, v10, vcc
	v_cmp_gt_f32_e32 vcc, 0, v7
	s_xor_b64 s[2:3], s[2:3], s[6:7]
	v_cndmask_b32_e32 v10, v10, v11, vcc
	v_cndmask_b32_e64 v11, v12, 0, s[2:3]
	v_cmp_neq_f32_e64 vcc, |v7|, 1.0
	v_cndmask_b32_e32 v11, 1.0, v11, vcc
	v_cmp_class_f32_e64 vcc, v8, s17
	v_cndmask_b32_e32 v10, v10, v11, vcc
	v_cmp_eq_f32_e32 vcc, 0, v7
	v_cmp_gt_f32_e64 s[2:3], 0, v8
	s_xor_b64 s[2:3], s[2:3], vcc
	v_cmp_class_f32_e64 s[6:7], v7, s17
	v_cndmask_b32_e64 v8, v12, 0, s[2:3]
	v_cndmask_b32_e64 v11, 0, v7, s[0:1]
	v_bfi_b32 v8, s18, v8, v11
	s_or_b64 vcc, vcc, s[6:7]
	v_cndmask_b32_e32 v8, v10, v8, vcc
	v_cmp_o_f32_e32 vcc, v7, v7
	v_cndmask_b32_e32 v7, v13, v8, vcc
	v_mul_f32_e32 v7, v7, v9
	s_load_dwordx4 s[4:7], s[4:5], 0x40
	s_waitcnt vmcnt(0)
	v_div_scale_f32 v8, s[0:1], v6, v6, v7
	v_div_scale_f32 v9, vcc, v7, v6, v7
	s_waitcnt lgkmcnt(0)
	v_cmp_eq_f32_e64 s[0:1], s5, 0
	v_rcp_f32_e32 v10, v8
	v_fma_f32 v11, -v8, v10, 1.0
	v_fmac_f32_e32 v10, v11, v10
	v_mul_f32_e32 v11, v9, v10
	v_fma_f32 v12, -v8, v11, v9
	v_fmac_f32_e32 v11, v12, v10
	v_fma_f32 v8, -v8, v11, v9
	v_div_fmas_f32 v8, v8, v10, v11
	s_and_b64 vcc, exec, s[0:1]
	v_div_fixup_f32 v8, v8, v6, v7
	v_mul_f32_e32 v6, s4, v8
	s_cbranch_vccnz .LBB19_9
; %bb.8:
	v_cvt_f32_i32_e32 v5, v5
	v_div_scale_f32 v9, s[0:1], s4, s4, 1.0
	v_mov_b32_e32 v7, s7
	v_sub_f32_e32 v7, s16, v7
	v_subrev_f32_e32 v5, s7, v5
	v_max_f32_e32 v7, 0x3a83126f, v7
	v_div_scale_f32 v10, s[0:1], v7, v7, v5
	v_div_scale_f32 v11, s[0:1], 1.0, s4, 1.0
	v_div_scale_f32 v12, vcc, v5, v7, v5
	s_mov_b32 s2, 0x3f317217
	v_rcp_f32_e32 v13, v9
	v_fma_f32 v14, -v9, v13, 1.0
	v_fmac_f32_e32 v13, v14, v13
	v_rcp_f32_e32 v15, v10
	v_mul_f32_e32 v14, v11, v13
	v_fma_f32 v16, -v9, v14, v11
	v_fmac_f32_e32 v14, v16, v13
	v_fma_f32 v16, -v10, v15, 1.0
	v_fmac_f32_e32 v15, v16, v15
	v_fma_f32 v9, -v9, v14, v11
	v_mul_f32_e32 v11, v12, v15
	v_fma_f32 v16, -v10, v11, v12
	v_fmac_f32_e32 v11, v16, v15
	v_fma_f32 v10, -v10, v11, v12
	v_div_fmas_f32 v10, v10, v15, v11
	s_mov_b64 vcc, s[0:1]
	v_div_fmas_f32 v9, v9, v13, v14
	s_mov_b32 s0, 0x800000
	v_mov_b32_e32 v11, 0x41b17218
	v_div_fixup_f32 v5, v10, v7, v5 clamp
	v_sub_f32_e32 v5, 1.0, v5
	v_div_fixup_f32 v7, v9, s4, 1.0
	v_cmp_gt_f32_e32 vcc, s0, v7
	s_and_b64 s[0:1], vcc, exec
	s_cselect_b32 s0, 32, 0
	v_ldexp_f32 v7, v7, s0
	v_log_f32_e32 v7, v7
	v_mul_f32_e32 v9, s5, v5
	v_fma_f32 v5, -s5, v5, 1.0
	v_mul_f32_e32 v6, v5, v6
	v_mul_f32_e32 v5, 0x3f317217, v7
	v_fma_f32 v5, v7, s2, -v5
	v_fmac_f32_e32 v5, 0x3377d1cf, v7
	v_cndmask_b32_e32 v10, 0, v11, vcc
	v_fmac_f32_e32 v5, 0x3f317217, v7
	v_cmp_lt_f32_e64 vcc, |v7|, s15
	v_cndmask_b32_e32 v5, v7, v5, vcc
	v_sub_f32_e32 v5, v5, v10
	s_mov_b32 s0, 0x3dcccccd
	v_fma_f32 v5, v5, s0, 1.0
	v_fmac_f32_e32 v6, v9, v8
	v_mul_f32_e32 v7, s6, v5
	s_branch .LBB19_10
.LBB19_9:
	v_mov_b32_e32 v7, s6
.LBB19_10:
	v_and_b32_e32 v5, 0x7fffffff, v6
	s_brev_b32 s0, 18
	v_cmp_nlt_f32_e64 s[6:7], |v6|, s0
	v_lshrrev_b32_e32 v10, 23, v5
                                        ; implicit-def: $vgpr9
                                        ; implicit-def: $vgpr8
	s_and_saveexec_b64 s[0:1], s[6:7]
	s_xor_b64 s[16:17], exec, s[0:1]
	s_cbranch_execz .LBB19_12
; %bb.11:
	v_and_b32_e32 v8, 0x7fffff, v5
	v_or_b32_e32 v19, 0x800000, v8
	s_mov_b32 s0, 0xfe5163ab
	v_mad_u64_u32 v[8:9], s[0:1], v19, s0, 0
	v_mov_b32_e32 v12, 0
	s_mov_b32 s0, 0x3c439041
	v_mov_b32_e32 v11, v9
	v_mad_u64_u32 v[13:14], s[0:1], v19, s0, v[11:12]
	s_mov_b32 s0, 0xdb629599
	v_add_u32_e32 v9, 0xffffff88, v10
	v_mov_b32_e32 v11, v14
	v_mad_u64_u32 v[14:15], s[0:1], v19, s0, v[11:12]
	s_mov_b32 s0, 0xf534ddc0
	v_not_b32_e32 v18, 63
	v_mov_b32_e32 v11, v15
	v_mad_u64_u32 v[15:16], s[0:1], v19, s0, v[11:12]
	s_mov_b32 s0, 0xfc2757d1
	v_cmp_lt_u32_e32 vcc, 63, v9
	v_mov_b32_e32 v11, v16
	v_mad_u64_u32 v[16:17], s[0:1], v19, s0, v[11:12]
	v_cndmask_b32_e32 v11, 0, v18, vcc
	v_add_u32_e32 v9, v11, v9
	v_mov_b32_e32 v11, v17
	s_mov_b32 s0, 0x4e441529
	v_mad_u64_u32 v[17:18], s[0:1], v19, s0, v[11:12]
	v_not_b32_e32 v20, 31
	v_cmp_lt_u32_e64 s[0:1], 31, v9
	v_cndmask_b32_e64 v11, 0, v20, s[0:1]
	v_add_u32_e32 v9, v11, v9
	v_mov_b32_e32 v11, v18
	s_mov_b32 s2, 0xa2f9836e
	v_mad_u64_u32 v[11:12], s[2:3], v19, s2, v[11:12]
	v_cmp_lt_u32_e64 s[2:3], 31, v9
	v_cndmask_b32_e64 v18, 0, v20, s[2:3]
	v_add_u32_e32 v9, v18, v9
	v_cndmask_b32_e32 v18, v17, v15, vcc
	v_cndmask_b32_e32 v11, v11, v16, vcc
	;; [unrolled: 1-line block ×3, first 2 shown]
	v_cndmask_b32_e64 v19, v11, v18, s[0:1]
	v_cndmask_b32_e64 v11, v12, v11, s[0:1]
	v_cndmask_b32_e32 v12, v16, v14, vcc
	v_cndmask_b32_e64 v16, v18, v12, s[0:1]
	v_cndmask_b32_e64 v11, v11, v19, s[2:3]
	;; [unrolled: 1-line block ×3, first 2 shown]
	v_sub_u32_e32 v18, 32, v9
	v_alignbit_b32 v19, v11, v17, v18
	v_cmp_eq_u32_e64 s[4:5], 0, v9
	v_cndmask_b32_e64 v9, v19, v11, s[4:5]
	v_cndmask_b32_e32 v11, v15, v13, vcc
	v_cndmask_b32_e64 v12, v12, v11, s[0:1]
	v_cndmask_b32_e64 v13, v16, v12, s[2:3]
	v_alignbit_b32 v15, v17, v13, v18
	v_cndmask_b32_e32 v8, v14, v8, vcc
	v_cndmask_b32_e64 v15, v15, v17, s[4:5]
	v_bfe_u32 v19, v9, 29, 1
	v_cndmask_b32_e64 v8, v11, v8, s[0:1]
	v_alignbit_b32 v16, v9, v15, 30
	v_sub_u32_e32 v20, 0, v19
	v_cndmask_b32_e64 v8, v12, v8, s[2:3]
	v_xor_b32_e32 v16, v16, v20
	v_alignbit_b32 v11, v13, v8, v18
	v_cndmask_b32_e64 v11, v11, v13, s[4:5]
	v_ffbh_u32_e32 v13, v16
	v_alignbit_b32 v12, v15, v11, 30
	v_min_u32_e32 v13, 32, v13
	v_alignbit_b32 v8, v11, v8, 30
	v_xor_b32_e32 v12, v12, v20
	v_sub_u32_e32 v14, 31, v13
	v_xor_b32_e32 v8, v8, v20
	v_alignbit_b32 v15, v16, v12, v14
	v_alignbit_b32 v8, v12, v8, v14
	;; [unrolled: 1-line block ×3, first 2 shown]
	v_ffbh_u32_e32 v12, v11
	v_min_u32_e32 v12, 32, v12
	v_lshrrev_b32_e32 v17, 29, v9
	v_not_b32_e32 v14, v12
	v_alignbit_b32 v8, v11, v8, v14
	v_lshlrev_b32_e32 v11, 31, v17
	v_or_b32_e32 v14, 0x33000000, v11
	v_add_lshl_u32 v12, v12, v13, 23
	v_lshrrev_b32_e32 v8, 9, v8
	v_sub_u32_e32 v12, v14, v12
	v_or_b32_e32 v11, 0.5, v11
	v_lshlrev_b32_e32 v13, 23, v13
	v_or_b32_e32 v8, v12, v8
	v_lshrrev_b32_e32 v12, 9, v15
	v_sub_u32_e32 v11, v11, v13
	v_or_b32_e32 v11, v12, v11
	s_mov_b32 s0, 0x3fc90fda
	v_mul_f32_e32 v12, 0x3fc90fda, v11
	v_fma_f32 v13, v11, s0, -v12
	v_fmac_f32_e32 v13, 0x33a22168, v11
	v_fmac_f32_e32 v13, 0x3fc90fda, v8
	v_lshrrev_b32_e32 v9, 30, v9
	v_add_f32_e32 v8, v12, v13
	v_add_u32_e32 v9, v19, v9
	s_andn2_saveexec_b64 s[0:1], s[16:17]
	s_cbranch_execz .LBB19_14
	s_branch .LBB19_13
.LBB19_12:
	s_andn2_saveexec_b64 s[0:1], s[16:17]
	s_cbranch_execz .LBB19_14
.LBB19_13:
	s_mov_b32 s2, 0x3f22f983
	v_mul_f32_e64 v8, |v6|, s2
	v_rndne_f32_e32 v11, v8
	s_mov_b32 s2, 0xbfc90fda
	v_cvt_i32_f32_e32 v9, v11
	v_fma_f32 v8, v11, s2, |v6|
	v_fmac_f32_e32 v8, 0xb3a22168, v11
	v_fmac_f32_e32 v8, 0xa7c234c4, v11
.LBB19_14:
	s_or_b64 exec, exec, s[0:1]
                                        ; implicit-def: $vgpr12
                                        ; implicit-def: $vgpr11
	s_and_saveexec_b64 s[0:1], s[6:7]
	s_xor_b64 s[6:7], exec, s[0:1]
	s_cbranch_execz .LBB19_16
; %bb.15:
	v_and_b32_e32 v11, 0x7fffff, v5
	v_or_b32_e32 v20, 0x800000, v11
	s_mov_b32 s0, 0xfe5163ab
	v_mad_u64_u32 v[11:12], s[0:1], v20, s0, 0
	v_mov_b32_e32 v13, 0
	s_mov_b32 s0, 0x3c439041
	v_mad_u64_u32 v[14:15], s[0:1], v20, s0, v[12:13]
	s_mov_b32 s0, 0xdb629599
	v_add_u32_e32 v10, 0xffffff88, v10
	v_mov_b32_e32 v12, v15
	v_mad_u64_u32 v[15:16], s[0:1], v20, s0, v[12:13]
	s_mov_b32 s0, 0xf534ddc0
	v_not_b32_e32 v19, 63
	v_mov_b32_e32 v12, v16
	v_mad_u64_u32 v[16:17], s[0:1], v20, s0, v[12:13]
	s_mov_b32 s0, 0xfc2757d1
	v_cmp_lt_u32_e32 vcc, 63, v10
	v_mov_b32_e32 v12, v17
	v_mad_u64_u32 v[17:18], s[0:1], v20, s0, v[12:13]
	v_cndmask_b32_e32 v12, 0, v19, vcc
	v_add_u32_e32 v10, v12, v10
	v_mov_b32_e32 v12, v18
	s_mov_b32 s0, 0x4e441529
	v_mad_u64_u32 v[18:19], s[0:1], v20, s0, v[12:13]
	v_not_b32_e32 v21, 31
	v_cmp_lt_u32_e64 s[0:1], 31, v10
	v_cndmask_b32_e64 v12, 0, v21, s[0:1]
	v_add_u32_e32 v10, v12, v10
	v_mov_b32_e32 v12, v19
	s_mov_b32 s2, 0xa2f9836e
	v_mad_u64_u32 v[12:13], s[2:3], v20, s2, v[12:13]
	v_cmp_lt_u32_e64 s[2:3], 31, v10
	v_cndmask_b32_e64 v19, 0, v21, s[2:3]
	v_add_u32_e32 v10, v19, v10
	v_cndmask_b32_e32 v19, v18, v16, vcc
	v_cndmask_b32_e32 v12, v12, v17, vcc
	;; [unrolled: 1-line block ×3, first 2 shown]
	v_cndmask_b32_e64 v20, v12, v19, s[0:1]
	v_cndmask_b32_e64 v12, v13, v12, s[0:1]
	v_cndmask_b32_e32 v13, v17, v15, vcc
	v_cndmask_b32_e64 v17, v19, v13, s[0:1]
	v_cndmask_b32_e64 v12, v12, v20, s[2:3]
	;; [unrolled: 1-line block ×3, first 2 shown]
	v_sub_u32_e32 v19, 32, v10
	v_alignbit_b32 v20, v12, v18, v19
	v_cmp_eq_u32_e64 s[4:5], 0, v10
	v_cndmask_b32_e64 v10, v20, v12, s[4:5]
	v_cndmask_b32_e32 v12, v16, v14, vcc
	v_cndmask_b32_e64 v13, v13, v12, s[0:1]
	v_cndmask_b32_e64 v14, v17, v13, s[2:3]
	v_alignbit_b32 v16, v18, v14, v19
	v_cndmask_b32_e32 v11, v15, v11, vcc
	v_cndmask_b32_e64 v16, v16, v18, s[4:5]
	v_bfe_u32 v20, v10, 29, 1
	v_cndmask_b32_e64 v11, v12, v11, s[0:1]
	v_alignbit_b32 v17, v10, v16, 30
	v_sub_u32_e32 v21, 0, v20
	v_cndmask_b32_e64 v11, v13, v11, s[2:3]
	v_xor_b32_e32 v17, v17, v21
	v_alignbit_b32 v12, v14, v11, v19
	v_cndmask_b32_e64 v12, v12, v14, s[4:5]
	v_ffbh_u32_e32 v14, v17
	v_alignbit_b32 v13, v16, v12, 30
	v_min_u32_e32 v14, 32, v14
	v_alignbit_b32 v11, v12, v11, 30
	v_xor_b32_e32 v13, v13, v21
	v_sub_u32_e32 v15, 31, v14
	v_xor_b32_e32 v11, v11, v21
	v_alignbit_b32 v16, v17, v13, v15
	v_alignbit_b32 v11, v13, v11, v15
	v_alignbit_b32 v12, v16, v11, 9
	v_ffbh_u32_e32 v13, v12
	v_min_u32_e32 v13, 32, v13
	v_lshrrev_b32_e32 v18, 29, v10
	v_not_b32_e32 v15, v13
	v_alignbit_b32 v11, v12, v11, v15
	v_lshlrev_b32_e32 v12, 31, v18
	v_or_b32_e32 v15, 0x33000000, v12
	v_add_lshl_u32 v13, v13, v14, 23
	v_lshrrev_b32_e32 v11, 9, v11
	v_sub_u32_e32 v13, v15, v13
	v_or_b32_e32 v12, 0.5, v12
	v_lshlrev_b32_e32 v14, 23, v14
	v_or_b32_e32 v11, v13, v11
	v_lshrrev_b32_e32 v13, 9, v16
	v_sub_u32_e32 v12, v12, v14
	v_or_b32_e32 v12, v13, v12
	s_mov_b32 s0, 0x3fc90fda
	v_mul_f32_e32 v13, 0x3fc90fda, v12
	v_fma_f32 v14, v12, s0, -v13
	v_fmac_f32_e32 v14, 0x33a22168, v12
	v_fmac_f32_e32 v14, 0x3fc90fda, v11
	v_lshrrev_b32_e32 v10, 30, v10
	v_add_f32_e32 v11, v13, v14
	v_add_u32_e32 v12, v20, v10
	s_andn2_saveexec_b64 s[0:1], s[6:7]
	s_cbranch_execnz .LBB19_17
	s_branch .LBB19_18
.LBB19_16:
	s_andn2_saveexec_b64 s[0:1], s[6:7]
	s_cbranch_execz .LBB19_18
.LBB19_17:
	s_mov_b32 s2, 0x3f22f983
	v_mul_f32_e64 v10, |v6|, s2
	v_rndne_f32_e32 v10, v10
	s_mov_b32 s2, 0xbfc90fda
	v_cvt_i32_f32_e32 v12, v10
	v_fma_f32 v11, v10, s2, |v6|
	v_fmac_f32_e32 v11, 0xb3a22168, v10
	v_fmac_f32_e32 v11, 0xa7c234c4, v10
.LBB19_18:
	s_or_b64 exec, exec, s[0:1]
	v_lshlrev_b64 v[3:4], 1, v[3:4]
	v_mov_b32_e32 v10, s9
	v_add_co_u32_e32 v3, vcc, s8, v3
	v_addc_co_u32_e32 v4, vcc, v10, v4, vcc
	global_load_dword v3, v[3:4], off
	v_mul_f32_e32 v4, v8, v8
	v_mov_b32_e32 v13, 0x3c0881c4
	v_mov_b32_e32 v16, 0xbab64f3b
	v_mov_b32_e32 v10, 0x3c0881c4
	v_mov_b32_e32 v14, 0xbe2aaa9d
	v_mov_b32_e32 v15, 0xbab64f3b
	v_mov_b32_e32 v17, 0x3d2aabf7
	v_mul_f32_e32 v21, v11, v11
	v_and_b32_e32 v22, 1, v12
	v_lshlrev_b32_e32 v12, 30, v12
	v_fmac_f32_e32 v13, 0xb94c1982, v4
	v_fmac_f32_e32 v16, 0x37d75334, v4
	v_mov_b32_e32 v18, 0xbf000004
	v_xor_b32_e32 v5, v5, v6
	v_fmac_f32_e32 v10, 0xb94c1982, v21
	v_fmac_f32_e32 v15, 0x37d75334, v21
	v_and_b32_e32 v12, 0x80000000, v12
	v_fma_f32 v13, v4, v13, v14
	v_fma_f32 v16, v4, v16, v17
	v_and_b32_e32 v19, 1, v9
	v_fmac_f32_e32 v14, v21, v10
	v_fmac_f32_e32 v17, v21, v15
	v_xor_b32_e32 v5, v5, v12
	v_mul_f32_e32 v10, v4, v13
	v_fma_f32 v12, v4, v16, v18
	v_mul_f32_e32 v13, v21, v14
	v_fmac_f32_e32 v18, v21, v17
	v_fmac_f32_e32 v8, v8, v10
	v_fma_f32 v4, v4, v12, 1.0
	v_cmp_eq_u32_e32 vcc, 0, v19
	v_fmac_f32_e32 v11, v11, v13
	v_fma_f32 v10, v21, v18, 1.0
	v_cndmask_b32_e64 v4, -v8, v4, vcc
	v_cmp_eq_u32_e32 vcc, 0, v22
	s_movk_i32 s0, 0x1f8
	v_cndmask_b32_e32 v8, v10, v11, vcc
	v_lshlrev_b32_e32 v9, 30, v9
	v_xor_b32_e32 v5, v5, v8
	v_cmp_class_f32_e64 vcc, v6, s0
	v_mov_b32_e32 v20, 0x7fc00000
	v_and_b32_e32 v9, 0x80000000, v9
	v_xor_b32_e32 v4, v9, v4
	v_cndmask_b32_e32 v5, v20, v5, vcc
	v_cndmask_b32_e32 v4, v20, v4, vcc
	v_mul_f32_e32 v5, v7, v5
	v_mul_f32_e32 v4, v7, v4
	s_waitcnt vmcnt(0)
	v_cvt_f32_f16_sdwa v6, v3 dst_sel:DWORD dst_unused:UNUSED_PAD src0_sel:WORD_1
	v_cvt_f32_f16_e32 v8, v3
	v_mul_f32_e32 v6, v5, v6
	v_mul_f32_e32 v5, v5, v8
	v_fma_mixlo_f16 v6, v4, v3, -v6 op_sel_hi:[0,1,0]
	v_fma_mixlo_f16 v3, v4, v3, v5 op_sel:[0,1,0] op_sel_hi:[0,1,0]
	v_lshlrev_b32_e32 v3, 16, v3
	v_or_b32_sdwa v6, v3, v6 dst_sel:DWORD dst_unused:UNUSED_PAD src0_sel:DWORD src1_sel:WORD_0
.LBB19_19:
	s_or_b64 exec, exec, s[12:13]
	v_mul_lo_u32 v0, v0, s14
	s_waitcnt lgkmcnt(0)
	v_mov_b32_e32 v3, s11
	v_add3_u32 v0, v0, v1, v2
	v_ashrrev_i32_e32 v1, 31, v0
	v_lshlrev_b64 v[0:1], 1, v[0:1]
	v_add_co_u32_e32 v0, vcc, s10, v0
	v_addc_co_u32_e32 v1, vcc, v3, v1, vcc
	s_waitcnt vmcnt(0)
	global_store_dword v[0:1], v6, off
.LBB19_20:
	s_endpgm
	.section	.rodata,"a",@progbits
	.p2align	6, 0x0
	.amdhsa_kernel _ZL9rope_normILb1ELb1E6__halfS0_EvPKT1_PT2_iiiiiiiiiiPKifff14rope_corr_dimsfPKfPKli
		.amdhsa_group_segment_fixed_size 0
		.amdhsa_private_segment_fixed_size 0
		.amdhsa_kernarg_size 368
		.amdhsa_user_sgpr_count 6
		.amdhsa_user_sgpr_private_segment_buffer 1
		.amdhsa_user_sgpr_dispatch_ptr 0
		.amdhsa_user_sgpr_queue_ptr 0
		.amdhsa_user_sgpr_kernarg_segment_ptr 1
		.amdhsa_user_sgpr_dispatch_id 0
		.amdhsa_user_sgpr_flat_scratch_init 0
		.amdhsa_user_sgpr_private_segment_size 0
		.amdhsa_uses_dynamic_stack 0
		.amdhsa_system_sgpr_private_segment_wavefront_offset 0
		.amdhsa_system_sgpr_workgroup_id_x 1
		.amdhsa_system_sgpr_workgroup_id_y 1
		.amdhsa_system_sgpr_workgroup_id_z 0
		.amdhsa_system_sgpr_workgroup_info 0
		.amdhsa_system_vgpr_workitem_id 1
		.amdhsa_next_free_vgpr 23
		.amdhsa_next_free_sgpr 19
		.amdhsa_reserve_vcc 1
		.amdhsa_reserve_flat_scratch 0
		.amdhsa_float_round_mode_32 0
		.amdhsa_float_round_mode_16_64 0
		.amdhsa_float_denorm_mode_32 3
		.amdhsa_float_denorm_mode_16_64 3
		.amdhsa_dx10_clamp 1
		.amdhsa_ieee_mode 1
		.amdhsa_fp16_overflow 0
		.amdhsa_exception_fp_ieee_invalid_op 0
		.amdhsa_exception_fp_denorm_src 0
		.amdhsa_exception_fp_ieee_div_zero 0
		.amdhsa_exception_fp_ieee_overflow 0
		.amdhsa_exception_fp_ieee_underflow 0
		.amdhsa_exception_fp_ieee_inexact 0
		.amdhsa_exception_int_div_zero 0
	.end_amdhsa_kernel
	.section	.text._ZL9rope_normILb1ELb1E6__halfS0_EvPKT1_PT2_iiiiiiiiiiPKifff14rope_corr_dimsfPKfPKli,"axG",@progbits,_ZL9rope_normILb1ELb1E6__halfS0_EvPKT1_PT2_iiiiiiiiiiPKifff14rope_corr_dimsfPKfPKli,comdat
.Lfunc_end19:
	.size	_ZL9rope_normILb1ELb1E6__halfS0_EvPKT1_PT2_iiiiiiiiiiPKifff14rope_corr_dimsfPKfPKli, .Lfunc_end19-_ZL9rope_normILb1ELb1E6__halfS0_EvPKT1_PT2_iiiiiiiiiiPKifff14rope_corr_dimsfPKfPKli
                                        ; -- End function
	.set _ZL9rope_normILb1ELb1E6__halfS0_EvPKT1_PT2_iiiiiiiiiiPKifff14rope_corr_dimsfPKfPKli.num_vgpr, 23
	.set _ZL9rope_normILb1ELb1E6__halfS0_EvPKT1_PT2_iiiiiiiiiiPKifff14rope_corr_dimsfPKfPKli.num_agpr, 0
	.set _ZL9rope_normILb1ELb1E6__halfS0_EvPKT1_PT2_iiiiiiiiiiPKifff14rope_corr_dimsfPKfPKli.numbered_sgpr, 19
	.set _ZL9rope_normILb1ELb1E6__halfS0_EvPKT1_PT2_iiiiiiiiiiPKifff14rope_corr_dimsfPKfPKli.num_named_barrier, 0
	.set _ZL9rope_normILb1ELb1E6__halfS0_EvPKT1_PT2_iiiiiiiiiiPKifff14rope_corr_dimsfPKfPKli.private_seg_size, 0
	.set _ZL9rope_normILb1ELb1E6__halfS0_EvPKT1_PT2_iiiiiiiiiiPKifff14rope_corr_dimsfPKfPKli.uses_vcc, 1
	.set _ZL9rope_normILb1ELb1E6__halfS0_EvPKT1_PT2_iiiiiiiiiiPKifff14rope_corr_dimsfPKfPKli.uses_flat_scratch, 0
	.set _ZL9rope_normILb1ELb1E6__halfS0_EvPKT1_PT2_iiiiiiiiiiPKifff14rope_corr_dimsfPKfPKli.has_dyn_sized_stack, 0
	.set _ZL9rope_normILb1ELb1E6__halfS0_EvPKT1_PT2_iiiiiiiiiiPKifff14rope_corr_dimsfPKfPKli.has_recursion, 0
	.set _ZL9rope_normILb1ELb1E6__halfS0_EvPKT1_PT2_iiiiiiiiiiPKifff14rope_corr_dimsfPKfPKli.has_indirect_call, 0
	.section	.AMDGPU.csdata,"",@progbits
; Kernel info:
; codeLenInByte = 3808
; TotalNumSgprs: 23
; NumVgprs: 23
; ScratchSize: 0
; MemoryBound: 0
; FloatMode: 240
; IeeeMode: 1
; LDSByteSize: 0 bytes/workgroup (compile time only)
; SGPRBlocks: 2
; VGPRBlocks: 5
; NumSGPRsForWavesPerEU: 23
; NumVGPRsForWavesPerEU: 23
; Occupancy: 10
; WaveLimiterHint : 0
; COMPUTE_PGM_RSRC2:SCRATCH_EN: 0
; COMPUTE_PGM_RSRC2:USER_SGPR: 6
; COMPUTE_PGM_RSRC2:TRAP_HANDLER: 0
; COMPUTE_PGM_RSRC2:TGID_X_EN: 1
; COMPUTE_PGM_RSRC2:TGID_Y_EN: 1
; COMPUTE_PGM_RSRC2:TGID_Z_EN: 0
; COMPUTE_PGM_RSRC2:TIDIG_COMP_CNT: 1
	.section	.text._ZL9rope_neoxILb0ELb0EffEvPKT1_PT2_iiiiiiiiiiPKifff14rope_corr_dimsfPKfPKli,"axG",@progbits,_ZL9rope_neoxILb0ELb0EffEvPKT1_PT2_iiiiiiiiiiPKifff14rope_corr_dimsfPKfPKli,comdat
	.globl	_ZL9rope_neoxILb0ELb0EffEvPKT1_PT2_iiiiiiiiiiPKifff14rope_corr_dimsfPKfPKli ; -- Begin function _ZL9rope_neoxILb0ELb0EffEvPKT1_PT2_iiiiiiiiiiPKifff14rope_corr_dimsfPKfPKli
	.p2align	8
	.type	_ZL9rope_neoxILb0ELb0EffEvPKT1_PT2_iiiiiiiiiiPKifff14rope_corr_dimsfPKfPKli,@function
_ZL9rope_neoxILb0ELb0EffEvPKT1_PT2_iiiiiiiiiiPKifff14rope_corr_dimsfPKfPKli: ; @_ZL9rope_neoxILb0ELb0EffEvPKT1_PT2_iiiiiiiiiiPKifff14rope_corr_dimsfPKfPKli
; %bb.0:
	s_load_dword s2, s[4:5], 0x7c
	s_load_dwordx8 s[8:15], s[4:5], 0x10
	s_add_u32 s0, s4, 0x70
	s_addc_u32 s1, s5, 0
	s_waitcnt lgkmcnt(0)
	s_lshr_b32 s2, s2, 16
	s_mul_i32 s7, s7, s2
	v_add_lshl_u32 v5, s7, v1, 1
	v_cmp_gt_i32_e32 vcc, s8, v5
	s_and_saveexec_b64 s[2:3], vcc
	s_cbranch_execz .LBB20_19
; %bb.1:
	s_mul_i32 s2, s10, s9
	s_abs_i32 s3, s2
	v_cvt_f32_u32_e32 v1, s3
	s_load_dword s0, s[0:1], 0xc
	s_sub_i32 s1, 0, s3
	v_cvt_f32_u32_e32 v2, s9
	v_rcp_iflag_f32_e32 v1, v1
	s_waitcnt lgkmcnt(0)
	s_and_b32 s0, s0, 0xffff
	s_mul_i32 s6, s6, s0
	v_mul_f32_e32 v1, 0x4f7ffffe, v1
	v_cvt_u32_f32_e32 v1, v1
	v_add_u32_e32 v0, s6, v0
	v_sub_u32_e32 v4, 0, v0
	v_max_i32_e32 v4, v0, v4
	v_mul_lo_u32 v3, s1, v1
	v_rcp_iflag_f32_e32 v2, v2
	s_sub_i32 s0, 0, s9
	v_xor_b32_e32 v6, s2, v0
	v_mul_hi_u32 v3, v1, v3
	v_mul_f32_e32 v2, 0x4f7ffffe, v2
	v_cvt_u32_f32_e32 v2, v2
	v_ashrrev_i32_e32 v6, 31, v6
	v_add_u32_e32 v1, v1, v3
	v_mul_hi_u32 v1, v4, v1
	v_mul_lo_u32 v3, s0, v2
	s_load_dword s0, s[4:5], 0x68
	s_load_dwordx2 s[6:7], s[4:5], 0x30
	v_mul_lo_u32 v7, v1, s3
	v_add_u32_e32 v8, 1, v1
	v_mul_hi_u32 v3, v2, v3
	s_waitcnt lgkmcnt(0)
	s_cmp_eq_u32 s0, 0
	v_sub_u32_e32 v4, v4, v7
	v_cmp_le_u32_e32 vcc, s3, v4
	v_subrev_u32_e32 v7, s3, v4
	v_cndmask_b32_e32 v1, v1, v8, vcc
	v_cndmask_b32_e32 v4, v4, v7, vcc
	v_add_u32_e32 v7, 1, v1
	v_cmp_le_u32_e32 vcc, s3, v4
	v_cndmask_b32_e32 v1, v1, v7, vcc
	v_xor_b32_e32 v1, v1, v6
	v_sub_u32_e32 v6, v1, v6
	v_mul_lo_u32 v1, s2, v6
	v_add_u32_e32 v2, v2, v3
	v_sub_u32_e32 v7, v0, v1
	v_mul_hi_u32 v0, v7, v2
	v_mul_lo_u32 v1, v0, s9
	v_add_u32_e32 v2, 1, v0
	v_sub_u32_e32 v1, v7, v1
	v_cmp_le_u32_e32 vcc, s9, v1
	v_cndmask_b32_e32 v0, v0, v2, vcc
	v_subrev_u32_e32 v2, s9, v1
	v_cndmask_b32_e32 v1, v1, v2, vcc
	v_add_u32_e32 v2, 1, v0
	v_cmp_le_u32_e32 vcc, s9, v1
	v_cndmask_b32_e32 v3, v0, v2, vcc
	s_cbranch_scc1 .LBB20_3
; %bb.2:
	s_load_dwordx2 s[2:3], s[4:5], 0x60
	v_mov_b32_e32 v4, 0
	v_lshlrev_b64 v[0:1], 3, v[3:4]
	s_waitcnt lgkmcnt(0)
	v_mov_b32_e32 v2, s3
	v_add_co_u32_e32 v0, vcc, s2, v0
	v_addc_co_u32_e32 v1, vcc, v2, v1, vcc
	global_load_dword v0, v[0:1], off
	s_waitcnt vmcnt(0)
	v_mul_lo_u32 v0, s0, v0
	s_branch .LBB20_4
.LBB20_3:
	v_mul_lo_u32 v0, v6, s6
	v_mad_u64_u32 v[0:1], s[0:1], v3, s15, v[0:1]
.LBB20_4:
	v_mul_lo_u32 v1, v3, s9
	v_ashrrev_i32_e32 v2, 1, v5
	v_mul_lo_u32 v4, v3, s12
	v_cmp_le_i32_e32 vcc, s7, v5
	v_sub_u32_e32 v1, v7, v1
	v_mad_u64_u32 v[6:7], s[0:1], v6, s13, v[2:3]
	v_mul_lo_u32 v8, v1, s11
	v_mul_lo_u32 v7, v1, s14
	s_load_dwordx4 s[8:11], s[4:5], 0x0
	v_add3_u32 v1, v6, v4, v8
	v_add3_u32 v0, v7, v2, v0
	s_and_saveexec_b64 s[0:1], vcc
	s_xor_b64 s[0:1], exec, s[0:1]
	s_cbranch_execz .LBB20_6
; %bb.5:
	v_add_u32_e32 v3, v1, v2
	v_ashrrev_i32_e32 v4, 31, v3
	v_lshlrev_b64 v[3:4], 2, v[3:4]
	s_waitcnt lgkmcnt(0)
	v_mov_b32_e32 v1, s9
	v_add_co_u32_e32 v3, vcc, s8, v3
	v_addc_co_u32_e32 v4, vcc, v1, v4, vcc
	global_load_dword v5, v[3:4], off
	v_add_u32_e32 v0, v0, v2
	v_ashrrev_i32_e32 v1, 31, v0
	v_lshlrev_b64 v[0:1], 2, v[0:1]
	v_mov_b32_e32 v2, s11
	v_add_co_u32_e32 v0, vcc, s10, v0
	v_addc_co_u32_e32 v1, vcc, v2, v1, vcc
	s_waitcnt vmcnt(0)
	global_store_dword v[0:1], v5, off
	global_load_dword v2, v[3:4], off offset:4
                                        ; implicit-def: $vgpr3
                                        ; implicit-def: $vgpr5
	s_waitcnt vmcnt(0)
	global_store_dword v[0:1], v2, off offset:4
                                        ; implicit-def: $vgpr1
                                        ; implicit-def: $vgpr0
                                        ; implicit-def: $vgpr2
.LBB20_6:
	s_andn2_saveexec_b64 s[0:1], s[0:1]
	s_cbranch_execz .LBB20_19
; %bb.7:
	s_load_dwordx2 s[0:1], s[4:5], 0x38
	v_mov_b32_e32 v4, 0
	v_lshlrev_b64 v[3:4], 2, v[3:4]
	v_mov_b32_e32 v9, 0x3ecccdef
	s_brev_b32 s6, -2
	s_waitcnt lgkmcnt(0)
	v_mov_b32_e32 v6, s1
	v_add_co_u32_e32 v3, vcc, s0, v3
	v_addc_co_u32_e32 v4, vcc, v6, v4, vcc
	global_load_dword v6, v[3:4], off
	s_load_dwordx4 s[12:15], s[4:5], 0x40
	s_load_dwordx2 s[16:17], s[4:5], 0x50
	v_cvt_f32_i32_e32 v3, v5
	s_mov_b32 s0, 0x3f2aaaab
	v_mov_b32_e32 v5, 0x3e91f4c4
	s_mov_b32 s1, 0x3f317218
	v_mul_f32_e32 v3, 0.5, v3
	s_waitcnt lgkmcnt(0)
	v_cmp_neq_f32_e64 vcc, s17, 1.0
	v_cndmask_b32_e32 v4, 1.0, v3, vcc
	v_mov_b32_e32 v3, s17
	v_cmp_neq_f32_e32 vcc, 0, v4
	v_cndmask_b32_e32 v3, 1.0, v3, vcc
	v_frexp_mant_f32_e64 v10, |v3|
	v_cmp_gt_f32_e32 vcc, s0, v10
	v_cndmask_b32_e64 v11, 1.0, 2.0, vcc
	v_mul_f32_e32 v10, v10, v11
	v_add_f32_e32 v12, 1.0, v10
	v_cvt_f64_f32_e64 v[7:8], |v3|
	v_rcp_f32_e32 v13, v12
	v_add_f32_e32 v11, -1.0, v10
	v_add_f32_e32 v14, -1.0, v12
	v_frexp_exp_i32_f64_e32 v7, v[7:8]
	v_sub_f32_e32 v8, v10, v14
	v_mul_f32_e32 v10, v11, v13
	v_mul_f32_e32 v14, v12, v10
	v_fma_f32 v12, v10, v12, -v14
	v_fmac_f32_e32 v12, v10, v8
	v_add_f32_e32 v8, v14, v12
	v_sub_f32_e32 v15, v11, v8
	v_sub_f32_e32 v14, v8, v14
	;; [unrolled: 1-line block ×5, first 2 shown]
	v_add_f32_e32 v8, v12, v8
	v_add_f32_e32 v8, v15, v8
	v_mul_f32_e32 v8, v13, v8
	v_add_f32_e32 v12, v10, v8
	v_sub_f32_e32 v10, v12, v10
	v_mul_f32_e32 v13, v12, v12
	v_sub_f32_e32 v8, v8, v10
	v_fma_f32 v10, v12, v12, -v13
	v_add_f32_e32 v14, v8, v8
	v_fmac_f32_e32 v10, v12, v14
	v_add_f32_e32 v14, v13, v10
	v_fmac_f32_e32 v5, 0x3e76c4e1, v14
	v_sub_f32_e32 v13, v14, v13
	v_mul_f32_e32 v15, v12, v14
	v_fmac_f32_e32 v9, v14, v5
	v_sub_f32_e32 v5, v10, v13
	v_fma_f32 v10, v14, v12, -v15
	v_fmac_f32_e32 v10, v14, v8
	v_mul_f32_e32 v13, v14, v9
	v_fmac_f32_e32 v10, v5, v12
	v_fma_f32 v14, v14, v9, -v13
	v_add_f32_e32 v16, v15, v10
	v_fmac_f32_e32 v14, v5, v9
	v_sub_f32_e32 v5, v16, v15
	v_add_f32_e32 v9, v13, v14
	v_sub_f32_e32 v5, v10, v5
	v_add_f32_e32 v10, 0x3f2aaaaa, v9
	v_sub_f32_e32 v13, v9, v13
	v_sub_f32_e32 v13, v14, v13
	v_add_f32_e32 v14, 0xbf2aaaaa, v10
	v_subbrev_co_u32_e32 v7, vcc, 0, v7, vcc
	v_add_f32_e32 v13, 0x31739010, v13
	v_sub_f32_e32 v9, v9, v14
	v_cvt_f32_i32_e32 v7, v7
	v_add_f32_e32 v9, v13, v9
	v_add_f32_e32 v13, v10, v9
	v_sub_f32_e32 v10, v10, v13
	v_mul_f32_e32 v14, v16, v13
	v_add_f32_e32 v9, v9, v10
	v_fma_f32 v10, v16, v13, -v14
	v_mul_f32_e32 v11, 0x3f317218, v7
	v_fmac_f32_e32 v10, v16, v9
	v_fmac_f32_e32 v10, v5, v13
	s_movk_i32 s5, 0x204
	s_mov_b32 s0, 0x42b17218
	s_mov_b32 s4, 0x7f800000
	s_waitcnt vmcnt(0)
	v_cvt_f32_i32_e32 v5, v6
	v_fma_f32 v6, v7, s1, -v11
	v_fmac_f32_e32 v6, 0xb102e308, v7
	v_add_f32_e32 v9, v11, v6
	v_sub_f32_e32 v11, v9, v11
	v_sub_f32_e32 v6, v6, v11
	v_add_f32_e32 v11, v14, v10
	v_ldexp_f32 v7, v8, 1
	v_ldexp_f32 v8, v12, 1
	v_sub_f32_e32 v12, v11, v14
	v_sub_f32_e32 v10, v10, v12
	v_add_f32_e32 v12, v8, v11
	v_sub_f32_e32 v8, v12, v8
	v_sub_f32_e32 v8, v11, v8
	v_add_f32_e32 v7, v7, v10
	v_add_f32_e32 v7, v7, v8
	;; [unrolled: 1-line block ×3, first 2 shown]
	v_sub_f32_e32 v10, v8, v12
	v_sub_f32_e32 v7, v7, v10
	v_add_f32_e32 v10, v9, v8
	v_sub_f32_e32 v11, v10, v9
	v_sub_f32_e32 v12, v10, v11
	;; [unrolled: 1-line block ×4, first 2 shown]
	v_add_f32_e32 v8, v8, v9
	v_add_f32_e32 v9, v6, v7
	v_sub_f32_e32 v11, v9, v6
	v_sub_f32_e32 v12, v9, v11
	;; [unrolled: 1-line block ×4, first 2 shown]
	v_add_f32_e32 v6, v7, v6
	v_add_f32_e32 v7, v9, v8
	v_add_f32_e32 v8, v10, v7
	v_sub_f32_e32 v9, v8, v10
	v_sub_f32_e32 v7, v7, v9
	v_add_f32_e32 v6, v6, v7
	v_add_f32_e32 v7, v8, v6
	v_sub_f32_e32 v8, v7, v8
	v_sub_f32_e32 v6, v6, v8
	v_mul_f32_e32 v8, v4, v7
	v_fma_f32 v7, v4, v7, -v8
	v_fmac_f32_e32 v7, v4, v6
	v_add_f32_e32 v6, v8, v7
	v_cmp_class_f32_e64 vcc, v8, s5
	v_sub_f32_e32 v9, v6, v8
	v_cndmask_b32_e32 v6, v6, v8, vcc
	v_mov_b32_e32 v8, 0x37000000
	v_cmp_eq_f32_e32 vcc, s0, v6
	v_cndmask_b32_e32 v8, 0, v8, vcc
	v_sub_f32_e32 v7, v7, v9
	v_sub_f32_e32 v9, v6, v8
	s_mov_b32 s1, 0x3fb8aa3b
	v_mul_f32_e32 v10, 0x3fb8aa3b, v9
	v_fma_f32 v11, v9, s1, -v10
	v_rndne_f32_e32 v12, v10
	v_fmac_f32_e32 v11, 0x32a5705f, v9
	v_sub_f32_e32 v10, v10, v12
	v_add_f32_e32 v10, v10, v11
	v_exp_f32_e32 v10, v10
	v_cvt_i32_f32_e32 v11, v12
	v_cmp_neq_f32_e64 vcc, |v6|, s4
	s_mov_b32 s1, 0xc2ce8ed0
	v_cndmask_b32_e32 v6, 0, v7, vcc
	v_ldexp_f32 v7, v10, v11
	v_cmp_ngt_f32_e32 vcc, s1, v9
	v_add_f32_e32 v6, v8, v6
	v_cndmask_b32_e32 v7, 0, v7, vcc
	v_mov_b32_e32 v8, 0x7f800000
	v_cmp_nlt_f32_e32 vcc, s0, v9
	v_cndmask_b32_e32 v7, v8, v7, vcc
	v_fma_f32 v6, v7, v6, v7
	v_cmp_class_f32_e64 vcc, v7, s5
	v_cndmask_b32_e32 v6, v6, v7, vcc
	v_trunc_f32_e32 v7, v4
	v_cmp_eq_f32_e32 vcc, v7, v4
	v_mul_f32_e32 v7, 0.5, v4
	v_trunc_f32_e32 v10, v7
	v_cmp_neq_f32_e64 s[0:1], v10, v7
	s_and_b64 s[0:1], vcc, s[0:1]
	v_cndmask_b32_e64 v7, 1.0, v3, s[0:1]
	v_mov_b32_e32 v9, 0x7fc00000
	v_bfi_b32 v6, s6, v6, v7
	v_cmp_neq_f32_e64 s[2:3], v4, |v4|
	v_cmp_lt_f32_e64 s[18:19], |v3|, 1.0
	v_cndmask_b32_e32 v7, v9, v6, vcc
	v_cmp_gt_f32_e32 vcc, 0, v3
	s_xor_b64 s[2:3], s[2:3], s[18:19]
	v_cndmask_b32_e32 v6, v6, v7, vcc
	v_cndmask_b32_e64 v7, v8, 0, s[2:3]
	v_cmp_neq_f32_e64 vcc, |v3|, 1.0
	v_cndmask_b32_e32 v7, 1.0, v7, vcc
	v_cmp_class_f32_e64 vcc, v4, s5
	v_cndmask_b32_e32 v6, v6, v7, vcc
	v_cmp_eq_f32_e32 vcc, 0, v3
	v_cmp_gt_f32_e64 s[2:3], 0, v4
	s_xor_b64 s[2:3], s[2:3], vcc
	v_cmp_class_f32_e64 s[18:19], v3, s5
	v_cndmask_b32_e64 v4, v8, 0, s[2:3]
	v_cndmask_b32_e64 v7, 0, v3, s[0:1]
	v_bfi_b32 v4, s6, v4, v7
	s_or_b64 vcc, vcc, s[18:19]
	v_cndmask_b32_e32 v4, v6, v4, vcc
	v_cmp_o_f32_e32 vcc, v3, v3
	v_cndmask_b32_e32 v3, v9, v4, vcc
	v_mul_f32_e32 v5, v3, v5
	v_cmp_eq_f32_e64 s[0:1], s13, 0
	v_mul_f32_e32 v3, s12, v5
	s_and_b64 vcc, exec, s[0:1]
	s_cbranch_vccnz .LBB20_9
; %bb.8:
	v_cvt_f32_i32_e32 v2, v2
	v_div_scale_f32 v6, s[0:1], s12, s12, 1.0
	v_mov_b32_e32 v4, s15
	v_sub_f32_e32 v4, s16, v4
	v_subrev_f32_e32 v2, s15, v2
	v_max_f32_e32 v4, 0x3a83126f, v4
	v_div_scale_f32 v7, s[0:1], v4, v4, v2
	v_div_scale_f32 v8, s[0:1], 1.0, s12, 1.0
	v_div_scale_f32 v9, vcc, v2, v4, v2
	s_mov_b32 s2, 0x3f317217
	v_rcp_f32_e32 v10, v6
	v_fma_f32 v11, -v6, v10, 1.0
	v_fmac_f32_e32 v10, v11, v10
	v_rcp_f32_e32 v12, v7
	v_mul_f32_e32 v11, v8, v10
	v_fma_f32 v13, -v6, v11, v8
	v_fmac_f32_e32 v11, v13, v10
	v_fma_f32 v13, -v7, v12, 1.0
	v_fmac_f32_e32 v12, v13, v12
	v_fma_f32 v6, -v6, v11, v8
	v_mul_f32_e32 v8, v9, v12
	v_fma_f32 v13, -v7, v8, v9
	v_fmac_f32_e32 v8, v13, v12
	v_fma_f32 v7, -v7, v8, v9
	v_div_fmas_f32 v7, v7, v12, v8
	s_mov_b64 vcc, s[0:1]
	v_div_fmas_f32 v6, v6, v10, v11
	s_mov_b32 s0, 0x800000
	v_mov_b32_e32 v8, 0x41b17218
	v_div_fixup_f32 v2, v7, v4, v2 clamp
	v_sub_f32_e32 v2, 1.0, v2
	v_div_fixup_f32 v4, v6, s12, 1.0
	v_cmp_gt_f32_e32 vcc, s0, v4
	s_and_b64 s[0:1], vcc, exec
	s_cselect_b32 s0, 32, 0
	v_ldexp_f32 v4, v4, s0
	v_log_f32_e32 v4, v4
	v_mul_f32_e32 v6, s13, v2
	v_fma_f32 v2, -s13, v2, 1.0
	v_mul_f32_e32 v3, v2, v3
	v_mul_f32_e32 v2, 0x3f317217, v4
	v_fma_f32 v2, v4, s2, -v2
	v_fmac_f32_e32 v2, 0x3377d1cf, v4
	v_cndmask_b32_e32 v7, 0, v8, vcc
	v_fmac_f32_e32 v2, 0x3f317217, v4
	v_cmp_lt_f32_e64 vcc, |v4|, s4
	v_cndmask_b32_e32 v2, v4, v2, vcc
	v_sub_f32_e32 v2, v2, v7
	s_mov_b32 s0, 0x3dcccccd
	v_fma_f32 v2, v2, s0, 1.0
	v_fmac_f32_e32 v3, v6, v5
	v_mul_f32_e32 v4, s14, v2
	s_branch .LBB20_10
.LBB20_9:
	v_mov_b32_e32 v4, s14
.LBB20_10:
	v_and_b32_e32 v5, 0x7fffffff, v3
	s_brev_b32 s0, 18
	v_cmp_nlt_f32_e64 s[12:13], |v3|, s0
	v_lshrrev_b32_e32 v2, 23, v5
                                        ; implicit-def: $vgpr7
                                        ; implicit-def: $vgpr6
	s_and_saveexec_b64 s[0:1], s[12:13]
	s_xor_b64 s[14:15], exec, s[0:1]
	s_cbranch_execz .LBB20_12
; %bb.11:
	v_and_b32_e32 v6, 0x7fffff, v5
	v_or_b32_e32 v15, 0x800000, v6
	s_mov_b32 s0, 0xfe5163ab
	v_mad_u64_u32 v[6:7], s[0:1], v15, s0, 0
	v_mov_b32_e32 v8, 0
	s_mov_b32 s0, 0x3c439041
	v_mad_u64_u32 v[9:10], s[0:1], v15, s0, v[7:8]
	s_mov_b32 s0, 0xdb629599
	v_add_u32_e32 v14, 0xffffff88, v2
	v_mov_b32_e32 v7, v10
	v_mad_u64_u32 v[10:11], s[0:1], v15, s0, v[7:8]
	s_mov_b32 s0, 0xf534ddc0
	v_not_b32_e32 v16, 63
	v_mov_b32_e32 v7, v11
	v_mad_u64_u32 v[11:12], s[0:1], v15, s0, v[7:8]
	s_mov_b32 s0, 0xfc2757d1
	v_cmp_lt_u32_e32 vcc, 63, v14
	v_mov_b32_e32 v7, v12
	v_mad_u64_u32 v[12:13], s[0:1], v15, s0, v[7:8]
	v_cndmask_b32_e32 v7, 0, v16, vcc
	v_add_u32_e32 v16, v7, v14
	v_mov_b32_e32 v7, v13
	s_mov_b32 s0, 0x4e441529
	v_mad_u64_u32 v[13:14], s[0:1], v15, s0, v[7:8]
	v_not_b32_e32 v17, 31
	v_cmp_lt_u32_e64 s[0:1], 31, v16
	v_cndmask_b32_e64 v7, 0, v17, s[0:1]
	v_add_u32_e32 v16, v7, v16
	v_mov_b32_e32 v7, v14
	s_mov_b32 s2, 0xa2f9836e
	v_mad_u64_u32 v[7:8], s[2:3], v15, s2, v[7:8]
	v_cmp_lt_u32_e64 s[2:3], 31, v16
	v_cndmask_b32_e64 v14, 0, v17, s[2:3]
	v_cndmask_b32_e32 v15, v13, v11, vcc
	v_cndmask_b32_e32 v7, v7, v12, vcc
	;; [unrolled: 1-line block ×3, first 2 shown]
	v_add_u32_e32 v14, v14, v16
	v_cndmask_b32_e64 v16, v7, v15, s[0:1]
	v_cndmask_b32_e64 v7, v8, v7, s[0:1]
	v_cndmask_b32_e32 v8, v12, v10, vcc
	v_cndmask_b32_e64 v12, v15, v8, s[0:1]
	v_cndmask_b32_e32 v9, v11, v9, vcc
	v_cndmask_b32_e64 v7, v7, v16, s[2:3]
	v_cndmask_b32_e64 v13, v16, v12, s[2:3]
	v_sub_u32_e32 v15, 32, v14
	v_cndmask_b32_e64 v8, v8, v9, s[0:1]
	v_alignbit_b32 v16, v7, v13, v15
	v_cmp_eq_u32_e64 s[4:5], 0, v14
	v_cndmask_b32_e64 v11, v12, v8, s[2:3]
	v_cndmask_b32_e64 v7, v16, v7, s[4:5]
	v_alignbit_b32 v12, v13, v11, v15
	v_cndmask_b32_e32 v6, v10, v6, vcc
	v_cndmask_b32_e64 v12, v12, v13, s[4:5]
	v_bfe_u32 v16, v7, 29, 1
	v_cndmask_b32_e64 v6, v9, v6, s[0:1]
	v_alignbit_b32 v13, v7, v12, 30
	v_sub_u32_e32 v17, 0, v16
	v_cndmask_b32_e64 v6, v8, v6, s[2:3]
	v_xor_b32_e32 v13, v13, v17
	v_alignbit_b32 v8, v11, v6, v15
	v_cndmask_b32_e64 v8, v8, v11, s[4:5]
	v_ffbh_u32_e32 v10, v13
	v_alignbit_b32 v9, v12, v8, 30
	v_min_u32_e32 v10, 32, v10
	v_alignbit_b32 v6, v8, v6, 30
	v_xor_b32_e32 v9, v9, v17
	v_sub_u32_e32 v11, 31, v10
	v_xor_b32_e32 v6, v6, v17
	v_alignbit_b32 v12, v13, v9, v11
	v_alignbit_b32 v6, v9, v6, v11
	;; [unrolled: 1-line block ×3, first 2 shown]
	v_ffbh_u32_e32 v9, v8
	v_min_u32_e32 v9, 32, v9
	v_lshrrev_b32_e32 v14, 29, v7
	v_not_b32_e32 v11, v9
	v_alignbit_b32 v6, v8, v6, v11
	v_lshlrev_b32_e32 v8, 31, v14
	v_or_b32_e32 v11, 0x33000000, v8
	v_add_lshl_u32 v9, v9, v10, 23
	v_lshrrev_b32_e32 v6, 9, v6
	v_sub_u32_e32 v9, v11, v9
	v_or_b32_e32 v8, 0.5, v8
	v_lshlrev_b32_e32 v10, 23, v10
	v_or_b32_e32 v6, v9, v6
	v_lshrrev_b32_e32 v9, 9, v12
	v_sub_u32_e32 v8, v8, v10
	v_or_b32_e32 v8, v9, v8
	s_mov_b32 s0, 0x3fc90fda
	v_mul_f32_e32 v9, 0x3fc90fda, v8
	v_fma_f32 v10, v8, s0, -v9
	v_fmac_f32_e32 v10, 0x33a22168, v8
	v_fmac_f32_e32 v10, 0x3fc90fda, v6
	v_lshrrev_b32_e32 v7, 30, v7
	v_add_f32_e32 v6, v9, v10
	v_add_u32_e32 v7, v16, v7
	s_andn2_saveexec_b64 s[0:1], s[14:15]
	s_cbranch_execz .LBB20_14
	s_branch .LBB20_13
.LBB20_12:
	s_andn2_saveexec_b64 s[0:1], s[14:15]
	s_cbranch_execz .LBB20_14
.LBB20_13:
	s_mov_b32 s2, 0x3f22f983
	v_mul_f32_e64 v6, |v3|, s2
	v_rndne_f32_e32 v8, v6
	s_mov_b32 s2, 0xbfc90fda
	v_cvt_i32_f32_e32 v7, v8
	v_fma_f32 v6, v8, s2, |v3|
	v_fmac_f32_e32 v6, 0xb3a22168, v8
	v_fmac_f32_e32 v6, 0xa7c234c4, v8
.LBB20_14:
	s_or_b64 exec, exec, s[0:1]
                                        ; implicit-def: $vgpr9
                                        ; implicit-def: $vgpr8
	s_and_saveexec_b64 s[0:1], s[12:13]
	s_xor_b64 s[12:13], exec, s[0:1]
	s_cbranch_execz .LBB20_16
; %bb.15:
	v_and_b32_e32 v8, 0x7fffff, v5
	v_or_b32_e32 v17, 0x800000, v8
	s_mov_b32 s0, 0xfe5163ab
	v_mad_u64_u32 v[8:9], s[0:1], v17, s0, 0
	v_mov_b32_e32 v10, 0
	s_mov_b32 s0, 0x3c439041
	v_mad_u64_u32 v[11:12], s[0:1], v17, s0, v[9:10]
	s_mov_b32 s0, 0xdb629599
	v_add_u32_e32 v2, 0xffffff88, v2
	v_mov_b32_e32 v9, v12
	v_mad_u64_u32 v[12:13], s[0:1], v17, s0, v[9:10]
	s_mov_b32 s0, 0xf534ddc0
	v_not_b32_e32 v16, 63
	v_mov_b32_e32 v9, v13
	v_mad_u64_u32 v[13:14], s[0:1], v17, s0, v[9:10]
	s_mov_b32 s0, 0xfc2757d1
	v_cmp_lt_u32_e32 vcc, 63, v2
	v_mov_b32_e32 v9, v14
	v_mad_u64_u32 v[14:15], s[0:1], v17, s0, v[9:10]
	v_cndmask_b32_e32 v9, 0, v16, vcc
	v_add_u32_e32 v2, v9, v2
	v_mov_b32_e32 v9, v15
	s_mov_b32 s0, 0x4e441529
	v_mad_u64_u32 v[15:16], s[0:1], v17, s0, v[9:10]
	v_not_b32_e32 v18, 31
	v_cmp_lt_u32_e64 s[0:1], 31, v2
	v_cndmask_b32_e64 v9, 0, v18, s[0:1]
	v_add_u32_e32 v2, v9, v2
	v_mov_b32_e32 v9, v16
	s_mov_b32 s2, 0xa2f9836e
	v_mad_u64_u32 v[9:10], s[2:3], v17, s2, v[9:10]
	v_cmp_lt_u32_e64 s[2:3], 31, v2
	v_cndmask_b32_e64 v16, 0, v18, s[2:3]
	v_add_u32_e32 v2, v16, v2
	v_cndmask_b32_e32 v16, v15, v13, vcc
	v_cndmask_b32_e32 v9, v9, v14, vcc
	;; [unrolled: 1-line block ×3, first 2 shown]
	v_cndmask_b32_e64 v17, v9, v16, s[0:1]
	v_cndmask_b32_e64 v9, v10, v9, s[0:1]
	v_cndmask_b32_e32 v10, v14, v12, vcc
	v_cndmask_b32_e64 v14, v16, v10, s[0:1]
	v_cndmask_b32_e64 v9, v9, v17, s[2:3]
	;; [unrolled: 1-line block ×3, first 2 shown]
	v_sub_u32_e32 v16, 32, v2
	v_alignbit_b32 v17, v9, v15, v16
	v_cmp_eq_u32_e64 s[4:5], 0, v2
	v_cndmask_b32_e64 v2, v17, v9, s[4:5]
	v_cndmask_b32_e32 v9, v13, v11, vcc
	v_cndmask_b32_e64 v10, v10, v9, s[0:1]
	v_cndmask_b32_e64 v11, v14, v10, s[2:3]
	v_alignbit_b32 v13, v15, v11, v16
	v_cndmask_b32_e32 v8, v12, v8, vcc
	v_cndmask_b32_e64 v13, v13, v15, s[4:5]
	v_bfe_u32 v17, v2, 29, 1
	v_cndmask_b32_e64 v8, v9, v8, s[0:1]
	v_alignbit_b32 v14, v2, v13, 30
	v_sub_u32_e32 v18, 0, v17
	v_cndmask_b32_e64 v8, v10, v8, s[2:3]
	v_xor_b32_e32 v14, v14, v18
	v_alignbit_b32 v9, v11, v8, v16
	v_cndmask_b32_e64 v9, v9, v11, s[4:5]
	v_ffbh_u32_e32 v11, v14
	v_alignbit_b32 v10, v13, v9, 30
	v_min_u32_e32 v11, 32, v11
	v_alignbit_b32 v8, v9, v8, 30
	v_xor_b32_e32 v10, v10, v18
	v_sub_u32_e32 v12, 31, v11
	v_xor_b32_e32 v8, v8, v18
	v_alignbit_b32 v13, v14, v10, v12
	v_alignbit_b32 v8, v10, v8, v12
	;; [unrolled: 1-line block ×3, first 2 shown]
	v_ffbh_u32_e32 v10, v9
	v_min_u32_e32 v10, 32, v10
	v_lshrrev_b32_e32 v15, 29, v2
	v_not_b32_e32 v12, v10
	v_alignbit_b32 v8, v9, v8, v12
	v_lshlrev_b32_e32 v9, 31, v15
	v_or_b32_e32 v12, 0x33000000, v9
	v_add_lshl_u32 v10, v10, v11, 23
	v_lshrrev_b32_e32 v8, 9, v8
	v_sub_u32_e32 v10, v12, v10
	v_or_b32_e32 v9, 0.5, v9
	v_lshlrev_b32_e32 v11, 23, v11
	v_or_b32_e32 v8, v10, v8
	v_lshrrev_b32_e32 v10, 9, v13
	v_sub_u32_e32 v9, v9, v11
	v_or_b32_e32 v9, v10, v9
	s_mov_b32 s0, 0x3fc90fda
	v_mul_f32_e32 v10, 0x3fc90fda, v9
	v_fma_f32 v11, v9, s0, -v10
	v_fmac_f32_e32 v11, 0x33a22168, v9
	v_fmac_f32_e32 v11, 0x3fc90fda, v8
	v_lshrrev_b32_e32 v2, 30, v2
	v_add_f32_e32 v8, v10, v11
	v_add_u32_e32 v9, v17, v2
	s_andn2_saveexec_b64 s[0:1], s[12:13]
	s_cbranch_execnz .LBB20_17
	s_branch .LBB20_18
.LBB20_16:
	s_andn2_saveexec_b64 s[0:1], s[12:13]
	s_cbranch_execz .LBB20_18
.LBB20_17:
	s_mov_b32 s2, 0x3f22f983
	v_mul_f32_e64 v2, |v3|, s2
	v_rndne_f32_e32 v2, v2
	s_mov_b32 s2, 0xbfc90fda
	v_cvt_i32_f32_e32 v9, v2
	v_fma_f32 v8, v2, s2, |v3|
	v_fmac_f32_e32 v8, 0xb3a22168, v2
	v_fmac_f32_e32 v8, 0xa7c234c4, v2
.LBB20_18:
	s_or_b64 exec, exec, s[0:1]
	v_ashrrev_i32_e32 v2, 31, v1
	s_lshr_b32 s0, s7, 31
	v_lshlrev_b64 v[1:2], 2, v[1:2]
	s_add_i32 s0, s7, s0
	s_ashr_i32 s0, s0, 1
	v_mov_b32_e32 v10, s9
	v_add_co_u32_e32 v1, vcc, s8, v1
	s_ashr_i32 s1, s0, 31
	v_addc_co_u32_e32 v2, vcc, v10, v2, vcc
	s_lshl_b64 s[0:1], s[0:1], 2
	v_mov_b32_e32 v12, s1
	v_add_co_u32_e32 v10, vcc, s0, v1
	v_addc_co_u32_e32 v11, vcc, v2, v12, vcc
	global_load_dword v13, v[1:2], off
	global_load_dword v14, v[10:11], off
	v_ashrrev_i32_e32 v1, 31, v0
	v_lshlrev_b64 v[0:1], 2, v[0:1]
	v_mov_b32_e32 v17, s11
	v_add_co_u32_e32 v0, vcc, s10, v0
	v_mul_f32_e32 v2, v6, v6
	v_mov_b32_e32 v16, 0xbab64f3b
	v_addc_co_u32_e32 v1, vcc, v17, v1, vcc
	v_mov_b32_e32 v17, 0xbab64f3b
	v_mul_f32_e32 v19, v8, v8
	v_mov_b32_e32 v10, 0x3c0881c4
	v_mov_b32_e32 v11, 0x3c0881c4
	;; [unrolled: 1-line block ×3, first 2 shown]
	v_fmac_f32_e32 v17, 0x37d75334, v2
	v_fmac_f32_e32 v16, 0x37d75334, v19
	v_mov_b32_e32 v15, 0xbe2aaa9d
	v_fmac_f32_e32 v11, 0xb94c1982, v2
	v_fmac_f32_e32 v10, 0xb94c1982, v19
	v_fma_f32 v17, v2, v17, v18
	v_fmac_f32_e32 v18, v19, v16
	v_lshlrev_b32_e32 v16, 30, v9
	v_fma_f32 v11, v2, v11, v15
	v_fmac_f32_e32 v15, v19, v10
	v_mov_b32_e32 v10, 0xbf000004
	v_xor_b32_e32 v5, v5, v3
	v_and_b32_e32 v16, 0x80000000, v16
	v_xor_b32_e32 v5, v5, v16
	v_and_b32_e32 v16, 1, v7
	v_fma_f32 v17, v2, v17, v10
	v_mul_f32_e32 v11, v2, v11
	v_fmac_f32_e32 v10, v19, v18
	v_and_b32_e32 v9, 1, v9
	v_mul_f32_e32 v15, v19, v15
	v_fmac_f32_e32 v6, v6, v11
	v_fma_f32 v2, v2, v17, 1.0
	v_cmp_eq_u32_e32 vcc, 0, v16
	v_lshlrev_b32_e32 v7, 30, v7
	v_fmac_f32_e32 v8, v8, v15
	v_fma_f32 v10, v19, v10, 1.0
	v_cndmask_b32_e64 v2, -v6, v2, vcc
	v_cmp_eq_u32_e32 vcc, 0, v9
	v_and_b32_e32 v7, 0x80000000, v7
	v_cndmask_b32_e32 v6, v10, v8, vcc
	v_xor_b32_e32 v2, v7, v2
	v_xor_b32_e32 v7, v5, v6
	v_add_co_u32_e32 v5, vcc, s0, v0
	s_movk_i32 s1, 0x1f8
	v_addc_co_u32_e32 v6, vcc, v1, v12, vcc
	v_mov_b32_e32 v18, 0x7fc00000
	v_cmp_class_f32_e64 vcc, v3, s1
	v_cndmask_b32_e32 v3, v18, v7, vcc
	v_cndmask_b32_e32 v2, v18, v2, vcc
	v_mul_f32_e64 v3, v3, -v4
	v_mul_f32_e32 v2, v4, v2
	s_waitcnt vmcnt(1)
	v_mul_f32_e32 v4, v13, v3
	s_waitcnt vmcnt(0)
	v_mul_f32_e32 v3, v14, v3
	v_fmac_f32_e32 v4, v2, v14
	v_fma_f32 v2, v2, v13, -v3
	global_store_dword v[0:1], v2, off
	global_store_dword v[5:6], v4, off
.LBB20_19:
	s_endpgm
	.section	.rodata,"a",@progbits
	.p2align	6, 0x0
	.amdhsa_kernel _ZL9rope_neoxILb0ELb0EffEvPKT1_PT2_iiiiiiiiiiPKifff14rope_corr_dimsfPKfPKli
		.amdhsa_group_segment_fixed_size 0
		.amdhsa_private_segment_fixed_size 0
		.amdhsa_kernarg_size 368
		.amdhsa_user_sgpr_count 6
		.amdhsa_user_sgpr_private_segment_buffer 1
		.amdhsa_user_sgpr_dispatch_ptr 0
		.amdhsa_user_sgpr_queue_ptr 0
		.amdhsa_user_sgpr_kernarg_segment_ptr 1
		.amdhsa_user_sgpr_dispatch_id 0
		.amdhsa_user_sgpr_flat_scratch_init 0
		.amdhsa_user_sgpr_private_segment_size 0
		.amdhsa_uses_dynamic_stack 0
		.amdhsa_system_sgpr_private_segment_wavefront_offset 0
		.amdhsa_system_sgpr_workgroup_id_x 1
		.amdhsa_system_sgpr_workgroup_id_y 1
		.amdhsa_system_sgpr_workgroup_id_z 0
		.amdhsa_system_sgpr_workgroup_info 0
		.amdhsa_system_vgpr_workitem_id 1
		.amdhsa_next_free_vgpr 20
		.amdhsa_next_free_sgpr 20
		.amdhsa_reserve_vcc 1
		.amdhsa_reserve_flat_scratch 0
		.amdhsa_float_round_mode_32 0
		.amdhsa_float_round_mode_16_64 0
		.amdhsa_float_denorm_mode_32 3
		.amdhsa_float_denorm_mode_16_64 3
		.amdhsa_dx10_clamp 1
		.amdhsa_ieee_mode 1
		.amdhsa_fp16_overflow 0
		.amdhsa_exception_fp_ieee_invalid_op 0
		.amdhsa_exception_fp_denorm_src 0
		.amdhsa_exception_fp_ieee_div_zero 0
		.amdhsa_exception_fp_ieee_overflow 0
		.amdhsa_exception_fp_ieee_underflow 0
		.amdhsa_exception_fp_ieee_inexact 0
		.amdhsa_exception_int_div_zero 0
	.end_amdhsa_kernel
	.section	.text._ZL9rope_neoxILb0ELb0EffEvPKT1_PT2_iiiiiiiiiiPKifff14rope_corr_dimsfPKfPKli,"axG",@progbits,_ZL9rope_neoxILb0ELb0EffEvPKT1_PT2_iiiiiiiiiiPKifff14rope_corr_dimsfPKfPKli,comdat
.Lfunc_end20:
	.size	_ZL9rope_neoxILb0ELb0EffEvPKT1_PT2_iiiiiiiiiiPKifff14rope_corr_dimsfPKfPKli, .Lfunc_end20-_ZL9rope_neoxILb0ELb0EffEvPKT1_PT2_iiiiiiiiiiPKifff14rope_corr_dimsfPKfPKli
                                        ; -- End function
	.set _ZL9rope_neoxILb0ELb0EffEvPKT1_PT2_iiiiiiiiiiPKifff14rope_corr_dimsfPKfPKli.num_vgpr, 20
	.set _ZL9rope_neoxILb0ELb0EffEvPKT1_PT2_iiiiiiiiiiPKifff14rope_corr_dimsfPKfPKli.num_agpr, 0
	.set _ZL9rope_neoxILb0ELb0EffEvPKT1_PT2_iiiiiiiiiiPKifff14rope_corr_dimsfPKfPKli.numbered_sgpr, 20
	.set _ZL9rope_neoxILb0ELb0EffEvPKT1_PT2_iiiiiiiiiiPKifff14rope_corr_dimsfPKfPKli.num_named_barrier, 0
	.set _ZL9rope_neoxILb0ELb0EffEvPKT1_PT2_iiiiiiiiiiPKifff14rope_corr_dimsfPKfPKli.private_seg_size, 0
	.set _ZL9rope_neoxILb0ELb0EffEvPKT1_PT2_iiiiiiiiiiPKifff14rope_corr_dimsfPKfPKli.uses_vcc, 1
	.set _ZL9rope_neoxILb0ELb0EffEvPKT1_PT2_iiiiiiiiiiPKifff14rope_corr_dimsfPKfPKli.uses_flat_scratch, 0
	.set _ZL9rope_neoxILb0ELb0EffEvPKT1_PT2_iiiiiiiiiiPKifff14rope_corr_dimsfPKfPKli.has_dyn_sized_stack, 0
	.set _ZL9rope_neoxILb0ELb0EffEvPKT1_PT2_iiiiiiiiiiPKifff14rope_corr_dimsfPKfPKli.has_recursion, 0
	.set _ZL9rope_neoxILb0ELb0EffEvPKT1_PT2_iiiiiiiiiiPKifff14rope_corr_dimsfPKfPKli.has_indirect_call, 0
	.section	.AMDGPU.csdata,"",@progbits
; Kernel info:
; codeLenInByte = 3784
; TotalNumSgprs: 24
; NumVgprs: 20
; ScratchSize: 0
; MemoryBound: 0
; FloatMode: 240
; IeeeMode: 1
; LDSByteSize: 0 bytes/workgroup (compile time only)
; SGPRBlocks: 2
; VGPRBlocks: 4
; NumSGPRsForWavesPerEU: 24
; NumVGPRsForWavesPerEU: 20
; Occupancy: 10
; WaveLimiterHint : 0
; COMPUTE_PGM_RSRC2:SCRATCH_EN: 0
; COMPUTE_PGM_RSRC2:USER_SGPR: 6
; COMPUTE_PGM_RSRC2:TRAP_HANDLER: 0
; COMPUTE_PGM_RSRC2:TGID_X_EN: 1
; COMPUTE_PGM_RSRC2:TGID_Y_EN: 1
; COMPUTE_PGM_RSRC2:TGID_Z_EN: 0
; COMPUTE_PGM_RSRC2:TIDIG_COMP_CNT: 1
	.section	.text._ZL9rope_neoxILb0ELb1EffEvPKT1_PT2_iiiiiiiiiiPKifff14rope_corr_dimsfPKfPKli,"axG",@progbits,_ZL9rope_neoxILb0ELb1EffEvPKT1_PT2_iiiiiiiiiiPKifff14rope_corr_dimsfPKfPKli,comdat
	.globl	_ZL9rope_neoxILb0ELb1EffEvPKT1_PT2_iiiiiiiiiiPKifff14rope_corr_dimsfPKfPKli ; -- Begin function _ZL9rope_neoxILb0ELb1EffEvPKT1_PT2_iiiiiiiiiiPKifff14rope_corr_dimsfPKfPKli
	.p2align	8
	.type	_ZL9rope_neoxILb0ELb1EffEvPKT1_PT2_iiiiiiiiiiPKifff14rope_corr_dimsfPKfPKli,@function
_ZL9rope_neoxILb0ELb1EffEvPKT1_PT2_iiiiiiiiiiPKifff14rope_corr_dimsfPKfPKli: ; @_ZL9rope_neoxILb0ELb1EffEvPKT1_PT2_iiiiiiiiiiPKifff14rope_corr_dimsfPKfPKli
; %bb.0:
	s_load_dword s2, s[4:5], 0x7c
	s_load_dwordx8 s[8:15], s[4:5], 0x10
	s_add_u32 s0, s4, 0x70
	s_addc_u32 s1, s5, 0
	s_waitcnt lgkmcnt(0)
	s_lshr_b32 s2, s2, 16
	s_mul_i32 s7, s7, s2
	v_add_lshl_u32 v5, s7, v1, 1
	v_cmp_gt_i32_e32 vcc, s8, v5
	s_and_saveexec_b64 s[2:3], vcc
	s_cbranch_execz .LBB21_19
; %bb.1:
	s_mul_i32 s2, s10, s9
	s_abs_i32 s3, s2
	v_cvt_f32_u32_e32 v1, s3
	s_load_dword s0, s[0:1], 0xc
	s_sub_i32 s1, 0, s3
	v_cvt_f32_u32_e32 v2, s9
	v_rcp_iflag_f32_e32 v1, v1
	s_waitcnt lgkmcnt(0)
	s_and_b32 s0, s0, 0xffff
	s_mul_i32 s6, s6, s0
	v_mul_f32_e32 v1, 0x4f7ffffe, v1
	v_cvt_u32_f32_e32 v1, v1
	v_add_u32_e32 v0, s6, v0
	v_sub_u32_e32 v4, 0, v0
	v_max_i32_e32 v4, v0, v4
	v_mul_lo_u32 v3, s1, v1
	v_rcp_iflag_f32_e32 v2, v2
	s_sub_i32 s0, 0, s9
	v_xor_b32_e32 v6, s2, v0
	v_mul_hi_u32 v3, v1, v3
	v_mul_f32_e32 v2, 0x4f7ffffe, v2
	v_cvt_u32_f32_e32 v2, v2
	v_ashrrev_i32_e32 v6, 31, v6
	v_add_u32_e32 v1, v1, v3
	v_mul_hi_u32 v1, v4, v1
	v_mul_lo_u32 v3, s0, v2
	s_load_dword s6, s[4:5], 0x68
	v_mul_lo_u32 v7, v1, s3
	v_add_u32_e32 v8, 1, v1
	v_mul_hi_u32 v3, v2, v3
	s_waitcnt lgkmcnt(0)
	s_cmp_eq_u32 s6, 0
	v_sub_u32_e32 v4, v4, v7
	v_cmp_le_u32_e32 vcc, s3, v4
	v_subrev_u32_e32 v7, s3, v4
	v_cndmask_b32_e32 v1, v1, v8, vcc
	v_cndmask_b32_e32 v4, v4, v7, vcc
	v_add_u32_e32 v7, 1, v1
	v_cmp_le_u32_e32 vcc, s3, v4
	v_cndmask_b32_e32 v1, v1, v7, vcc
	v_xor_b32_e32 v1, v1, v6
	v_sub_u32_e32 v6, v1, v6
	v_mul_lo_u32 v1, s2, v6
	v_add_u32_e32 v2, v2, v3
	s_load_dwordx2 s[16:17], s[4:5], 0x30
	s_load_dwordx4 s[0:3], s[4:5], 0x58
	v_sub_u32_e32 v7, v0, v1
	v_mul_hi_u32 v0, v7, v2
	v_mul_lo_u32 v1, v0, s9
	v_add_u32_e32 v2, 1, v0
	v_sub_u32_e32 v1, v7, v1
	v_cmp_le_u32_e32 vcc, s9, v1
	v_cndmask_b32_e32 v0, v0, v2, vcc
	v_subrev_u32_e32 v2, s9, v1
	v_cndmask_b32_e32 v1, v1, v2, vcc
	v_add_u32_e32 v2, 1, v0
	v_cmp_le_u32_e32 vcc, s9, v1
	v_cndmask_b32_e32 v3, v0, v2, vcc
	s_cbranch_scc1 .LBB21_3
; %bb.2:
	v_mov_b32_e32 v4, 0
	v_lshlrev_b64 v[0:1], 3, v[3:4]
	s_waitcnt lgkmcnt(0)
	v_mov_b32_e32 v2, s3
	v_add_co_u32_e32 v0, vcc, s2, v0
	v_addc_co_u32_e32 v1, vcc, v2, v1, vcc
	global_load_dword v0, v[0:1], off
	s_waitcnt vmcnt(0)
	v_mul_lo_u32 v0, s6, v0
	s_branch .LBB21_4
.LBB21_3:
	s_waitcnt lgkmcnt(0)
	v_mul_lo_u32 v0, v6, s16
	v_mad_u64_u32 v[0:1], s[2:3], v3, s15, v[0:1]
.LBB21_4:
	v_mul_lo_u32 v1, v3, s9
	v_ashrrev_i32_e32 v2, 1, v5
	v_mul_lo_u32 v4, v3, s12
	v_cmp_le_i32_e32 vcc, s17, v5
	v_sub_u32_e32 v1, v7, v1
	v_mad_u64_u32 v[6:7], s[2:3], v6, s13, v[2:3]
	v_mul_lo_u32 v8, v1, s11
	v_mul_lo_u32 v7, v1, s14
	s_load_dwordx4 s[8:11], s[4:5], 0x0
	v_add3_u32 v1, v6, v4, v8
	v_add3_u32 v0, v7, v2, v0
	s_and_saveexec_b64 s[2:3], vcc
	s_xor_b64 s[2:3], exec, s[2:3]
	s_cbranch_execz .LBB21_6
; %bb.5:
	v_add_u32_e32 v3, v1, v2
	v_ashrrev_i32_e32 v4, 31, v3
	v_lshlrev_b64 v[3:4], 2, v[3:4]
	s_waitcnt lgkmcnt(0)
	v_mov_b32_e32 v1, s9
	v_add_co_u32_e32 v3, vcc, s8, v3
	v_addc_co_u32_e32 v4, vcc, v1, v4, vcc
	global_load_dword v5, v[3:4], off
	v_add_u32_e32 v0, v0, v2
	v_ashrrev_i32_e32 v1, 31, v0
	v_lshlrev_b64 v[0:1], 2, v[0:1]
	v_mov_b32_e32 v2, s11
	v_add_co_u32_e32 v0, vcc, s10, v0
	v_addc_co_u32_e32 v1, vcc, v2, v1, vcc
	s_waitcnt vmcnt(0)
	global_store_dword v[0:1], v5, off
	global_load_dword v2, v[3:4], off offset:4
                                        ; implicit-def: $vgpr3
                                        ; implicit-def: $vgpr5
	s_waitcnt vmcnt(0)
	global_store_dword v[0:1], v2, off offset:4
                                        ; implicit-def: $vgpr1
                                        ; implicit-def: $vgpr0
                                        ; implicit-def: $vgpr2
.LBB21_6:
	s_andn2_saveexec_b64 s[2:3], s[2:3]
	s_cbranch_execz .LBB21_19
; %bb.7:
	s_load_dwordx2 s[2:3], s[4:5], 0x38
	s_load_dwordx2 s[12:13], s[4:5], 0x50
	v_mov_b32_e32 v4, 0
	v_lshlrev_b64 v[3:4], 2, v[3:4]
	v_mov_b32_e32 v8, 0x3e91f4c4
	s_waitcnt lgkmcnt(0)
	v_mov_b32_e32 v6, s3
	v_add_co_u32_e32 v3, vcc, s2, v3
	v_addc_co_u32_e32 v4, vcc, v6, v4, vcc
	global_load_dword v3, v[3:4], off
	v_cvt_f32_i32_e32 v4, v5
	v_cmp_neq_f32_e64 vcc, s13, 1.0
	s_mov_b32 s2, 0x3f2aaaab
	v_mov_b32_e32 v9, 0x3ecccdef
	v_mul_f32_e32 v4, 0.5, v4
	v_cndmask_b32_e32 v5, 1.0, v4, vcc
	v_mov_b32_e32 v4, s13
	v_cmp_neq_f32_e32 vcc, 0, v5
	v_cndmask_b32_e32 v4, 1.0, v4, vcc
	v_frexp_mant_f32_e64 v10, |v4|
	v_cmp_gt_f32_e32 vcc, s2, v10
	v_cvt_f64_f32_e64 v[6:7], |v4|
	v_cndmask_b32_e64 v11, 1.0, 2.0, vcc
	v_mul_f32_e32 v10, v10, v11
	v_add_f32_e32 v12, 1.0, v10
	v_rcp_f32_e32 v13, v12
	v_frexp_exp_i32_f64_e32 v6, v[6:7]
	v_add_f32_e32 v11, -1.0, v10
	v_add_f32_e32 v14, -1.0, v12
	v_sub_f32_e32 v7, v10, v14
	v_mul_f32_e32 v10, v11, v13
	v_mul_f32_e32 v14, v12, v10
	v_fma_f32 v12, v10, v12, -v14
	v_fmac_f32_e32 v12, v10, v7
	v_add_f32_e32 v7, v14, v12
	v_subbrev_co_u32_e32 v6, vcc, 0, v6, vcc
	v_sub_f32_e32 v15, v11, v7
	v_sub_f32_e32 v14, v7, v14
	v_cvt_f32_i32_e32 v16, v6
	v_sub_f32_e32 v6, v11, v15
	v_sub_f32_e32 v11, v14, v12
	;; [unrolled: 1-line block ×3, first 2 shown]
	v_add_f32_e32 v6, v11, v6
	v_add_f32_e32 v6, v15, v6
	v_mul_f32_e32 v6, v13, v6
	v_add_f32_e32 v12, v10, v6
	v_sub_f32_e32 v10, v12, v10
	v_mul_f32_e32 v13, v12, v12
	v_sub_f32_e32 v10, v6, v10
	v_fma_f32 v6, v12, v12, -v13
	v_add_f32_e32 v14, v10, v10
	v_fmac_f32_e32 v6, v12, v14
	v_add_f32_e32 v14, v13, v6
	v_fmac_f32_e32 v8, 0x3e76c4e1, v14
	v_mul_f32_e32 v15, v12, v14
	v_sub_f32_e32 v13, v14, v13
	v_fmac_f32_e32 v9, v14, v8
	v_fma_f32 v8, v14, v12, -v15
	v_sub_f32_e32 v6, v6, v13
	v_fmac_f32_e32 v8, v14, v10
	v_mul_f32_e32 v13, v14, v9
	v_fmac_f32_e32 v8, v6, v12
	v_fma_f32 v14, v14, v9, -v13
	v_add_f32_e32 v17, v15, v8
	v_fmac_f32_e32 v14, v6, v9
	v_sub_f32_e32 v6, v17, v15
	v_add_f32_e32 v9, v13, v14
	v_sub_f32_e32 v6, v8, v6
	v_add_f32_e32 v8, 0x3f2aaaaa, v9
	v_sub_f32_e32 v13, v9, v13
	v_sub_f32_e32 v13, v14, v13
	v_add_f32_e32 v14, 0xbf2aaaaa, v8
	v_add_f32_e32 v13, 0x31739010, v13
	v_sub_f32_e32 v9, v9, v14
	v_add_f32_e32 v9, v13, v9
	v_add_f32_e32 v13, v8, v9
	s_mov_b32 s3, 0x3f317218
	v_mul_f32_e32 v7, 0x3f317218, v16
	v_sub_f32_e32 v8, v8, v13
	v_mul_f32_e32 v14, v17, v13
	v_fma_f32 v11, v16, s3, -v7
	v_add_f32_e32 v8, v9, v8
	v_fma_f32 v9, v17, v13, -v14
	v_fmac_f32_e32 v9, v17, v8
	v_fmac_f32_e32 v11, 0xb102e308, v16
	;; [unrolled: 1-line block ×3, first 2 shown]
	v_ldexp_f32 v8, v12, 1
	s_movk_i32 s14, 0x204
	s_waitcnt vmcnt(0)
	v_cvt_f32_i32_e32 v6, v3
	v_ldexp_f32 v3, v10, 1
	v_add_f32_e32 v10, v7, v11
	v_sub_f32_e32 v7, v10, v7
	v_sub_f32_e32 v7, v11, v7
	v_add_f32_e32 v11, v14, v9
	v_sub_f32_e32 v12, v11, v14
	v_sub_f32_e32 v9, v9, v12
	;; [unrolled: 3-line block ×3, first 2 shown]
	v_add_f32_e32 v3, v3, v9
	v_add_f32_e32 v3, v3, v8
	v_add_f32_e32 v8, v12, v3
	v_sub_f32_e32 v9, v8, v12
	v_sub_f32_e32 v3, v3, v9
	v_add_f32_e32 v9, v10, v8
	v_sub_f32_e32 v11, v9, v10
	v_sub_f32_e32 v12, v9, v11
	;; [unrolled: 1-line block ×4, first 2 shown]
	v_add_f32_e32 v11, v7, v3
	v_add_f32_e32 v10, v8, v10
	v_sub_f32_e32 v8, v11, v7
	v_sub_f32_e32 v12, v11, v8
	;; [unrolled: 1-line block ×4, first 2 shown]
	v_add_f32_e32 v12, v3, v7
	v_ashrrev_i32_e32 v3, 31, v2
	v_lshlrev_b64 v[7:8], 2, v[2:3]
	v_mov_b32_e32 v3, s1
	v_add_co_u32_e32 v7, vcc, s0, v7
	v_addc_co_u32_e32 v8, vcc, v3, v8, vcc
	global_load_dword v3, v[7:8], off
	v_add_f32_e32 v7, v11, v10
	v_add_f32_e32 v8, v9, v7
	v_sub_f32_e32 v9, v8, v9
	v_sub_f32_e32 v7, v7, v9
	v_add_f32_e32 v7, v12, v7
	v_add_f32_e32 v9, v8, v7
	v_sub_f32_e32 v8, v9, v8
	v_sub_f32_e32 v7, v7, v8
	v_mul_f32_e32 v8, v5, v9
	v_fma_f32 v9, v5, v9, -v8
	v_fmac_f32_e32 v9, v5, v7
	v_add_f32_e32 v7, v8, v9
	v_cmp_class_f32_e64 vcc, v8, s14
	v_sub_f32_e32 v10, v7, v8
	v_cndmask_b32_e32 v7, v7, v8, vcc
	s_mov_b32 s0, 0x42b17218
	v_mov_b32_e32 v8, 0x37000000
	v_cmp_eq_f32_e32 vcc, s0, v7
	v_cndmask_b32_e32 v8, 0, v8, vcc
	v_sub_f32_e32 v9, v9, v10
	v_sub_f32_e32 v10, v7, v8
	s_mov_b32 s1, 0x3fb8aa3b
	v_mul_f32_e32 v11, 0x3fb8aa3b, v10
	v_fma_f32 v12, v10, s1, -v11
	v_rndne_f32_e32 v13, v11
	v_fmac_f32_e32 v12, 0x32a5705f, v10
	v_sub_f32_e32 v11, v11, v13
	v_add_f32_e32 v11, v11, v12
	v_exp_f32_e32 v11, v11
	v_cvt_i32_f32_e32 v12, v13
	s_mov_b32 s13, 0x7f800000
	v_cmp_neq_f32_e64 vcc, |v7|, s13
	v_cndmask_b32_e32 v7, 0, v9, vcc
	s_mov_b32 s1, 0xc2ce8ed0
	v_add_f32_e32 v7, v8, v7
	v_ldexp_f32 v8, v11, v12
	v_cmp_ngt_f32_e32 vcc, s1, v10
	v_cndmask_b32_e32 v8, 0, v8, vcc
	v_mov_b32_e32 v9, 0x7f800000
	v_cmp_nlt_f32_e32 vcc, s0, v10
	v_cndmask_b32_e32 v8, v9, v8, vcc
	v_fma_f32 v7, v8, v7, v8
	v_cmp_class_f32_e64 vcc, v8, s14
	v_cndmask_b32_e32 v7, v7, v8, vcc
	v_trunc_f32_e32 v8, v5
	v_cmp_eq_f32_e32 vcc, v8, v5
	v_mul_f32_e32 v8, 0.5, v5
	v_trunc_f32_e32 v11, v8
	v_cmp_neq_f32_e64 s[0:1], v11, v8
	s_and_b64 s[0:1], vcc, s[0:1]
	v_cndmask_b32_e64 v8, 1.0, v4, s[0:1]
	s_brev_b32 s15, -2
	v_mov_b32_e32 v10, 0x7fc00000
	v_bfi_b32 v7, s15, v7, v8
	v_cmp_neq_f32_e64 s[2:3], v5, |v5|
	v_cmp_lt_f32_e64 s[6:7], |v4|, 1.0
	v_cndmask_b32_e32 v8, v10, v7, vcc
	v_cmp_gt_f32_e32 vcc, 0, v4
	s_xor_b64 s[2:3], s[2:3], s[6:7]
	v_cndmask_b32_e32 v7, v7, v8, vcc
	v_cndmask_b32_e64 v8, v9, 0, s[2:3]
	v_cmp_neq_f32_e64 vcc, |v4|, 1.0
	v_cndmask_b32_e32 v8, 1.0, v8, vcc
	v_cmp_class_f32_e64 vcc, v5, s14
	v_cndmask_b32_e32 v7, v7, v8, vcc
	v_cmp_eq_f32_e32 vcc, 0, v4
	v_cmp_gt_f32_e64 s[2:3], 0, v5
	s_xor_b64 s[2:3], s[2:3], vcc
	v_cmp_class_f32_e64 s[6:7], v4, s14
	v_cndmask_b32_e64 v5, v9, 0, s[2:3]
	v_cndmask_b32_e64 v8, 0, v4, s[0:1]
	v_bfi_b32 v5, s15, v5, v8
	s_or_b64 vcc, vcc, s[6:7]
	v_cndmask_b32_e32 v5, v7, v5, vcc
	v_cmp_o_f32_e32 vcc, v4, v4
	v_cndmask_b32_e32 v4, v10, v5, vcc
	v_mul_f32_e32 v4, v4, v6
	s_load_dwordx4 s[4:7], s[4:5], 0x40
	s_waitcnt vmcnt(0)
	v_div_scale_f32 v5, s[0:1], v3, v3, v4
	v_div_scale_f32 v6, vcc, v4, v3, v4
	s_waitcnt lgkmcnt(0)
	v_cmp_eq_f32_e64 s[0:1], s5, 0
	v_rcp_f32_e32 v7, v5
	v_fma_f32 v8, -v5, v7, 1.0
	v_fmac_f32_e32 v7, v8, v7
	v_mul_f32_e32 v8, v6, v7
	v_fma_f32 v9, -v5, v8, v6
	v_fmac_f32_e32 v8, v9, v7
	v_fma_f32 v5, -v5, v8, v6
	v_div_fmas_f32 v5, v5, v7, v8
	s_and_b64 vcc, exec, s[0:1]
	v_div_fixup_f32 v5, v5, v3, v4
	v_mul_f32_e32 v3, s4, v5
	s_cbranch_vccnz .LBB21_9
; %bb.8:
	v_cvt_f32_i32_e32 v2, v2
	v_div_scale_f32 v6, s[0:1], s4, s4, 1.0
	v_mov_b32_e32 v4, s7
	v_sub_f32_e32 v4, s12, v4
	v_subrev_f32_e32 v2, s7, v2
	v_max_f32_e32 v4, 0x3a83126f, v4
	v_div_scale_f32 v7, s[0:1], v4, v4, v2
	v_div_scale_f32 v8, s[0:1], 1.0, s4, 1.0
	v_div_scale_f32 v9, vcc, v2, v4, v2
	s_mov_b32 s2, 0x3f317217
	v_rcp_f32_e32 v10, v6
	v_fma_f32 v11, -v6, v10, 1.0
	v_fmac_f32_e32 v10, v11, v10
	v_rcp_f32_e32 v12, v7
	v_mul_f32_e32 v11, v8, v10
	v_fma_f32 v13, -v6, v11, v8
	v_fmac_f32_e32 v11, v13, v10
	v_fma_f32 v13, -v7, v12, 1.0
	v_fmac_f32_e32 v12, v13, v12
	v_fma_f32 v6, -v6, v11, v8
	v_mul_f32_e32 v8, v9, v12
	v_fma_f32 v13, -v7, v8, v9
	v_fmac_f32_e32 v8, v13, v12
	v_fma_f32 v7, -v7, v8, v9
	v_div_fmas_f32 v7, v7, v12, v8
	s_mov_b64 vcc, s[0:1]
	v_div_fmas_f32 v6, v6, v10, v11
	s_mov_b32 s0, 0x800000
	v_mov_b32_e32 v8, 0x41b17218
	v_div_fixup_f32 v2, v7, v4, v2 clamp
	v_sub_f32_e32 v2, 1.0, v2
	v_div_fixup_f32 v4, v6, s4, 1.0
	v_cmp_gt_f32_e32 vcc, s0, v4
	s_and_b64 s[0:1], vcc, exec
	s_cselect_b32 s0, 32, 0
	v_ldexp_f32 v4, v4, s0
	v_log_f32_e32 v4, v4
	v_mul_f32_e32 v6, s5, v2
	v_fma_f32 v2, -s5, v2, 1.0
	v_mul_f32_e32 v3, v2, v3
	v_mul_f32_e32 v2, 0x3f317217, v4
	v_fma_f32 v2, v4, s2, -v2
	v_fmac_f32_e32 v2, 0x3377d1cf, v4
	v_cndmask_b32_e32 v7, 0, v8, vcc
	v_fmac_f32_e32 v2, 0x3f317217, v4
	v_cmp_lt_f32_e64 vcc, |v4|, s13
	v_cndmask_b32_e32 v2, v4, v2, vcc
	v_sub_f32_e32 v2, v2, v7
	s_mov_b32 s0, 0x3dcccccd
	v_fma_f32 v2, v2, s0, 1.0
	v_fmac_f32_e32 v3, v6, v5
	v_mul_f32_e32 v4, s6, v2
	s_branch .LBB21_10
.LBB21_9:
	v_mov_b32_e32 v4, s6
.LBB21_10:
	v_and_b32_e32 v5, 0x7fffffff, v3
	s_brev_b32 s0, 18
	v_cmp_nlt_f32_e64 s[6:7], |v3|, s0
	v_lshrrev_b32_e32 v2, 23, v5
                                        ; implicit-def: $vgpr7
                                        ; implicit-def: $vgpr6
	s_and_saveexec_b64 s[0:1], s[6:7]
	s_xor_b64 s[12:13], exec, s[0:1]
	s_cbranch_execz .LBB21_12
; %bb.11:
	v_and_b32_e32 v6, 0x7fffff, v5
	v_or_b32_e32 v15, 0x800000, v6
	s_mov_b32 s0, 0xfe5163ab
	v_mad_u64_u32 v[6:7], s[0:1], v15, s0, 0
	v_mov_b32_e32 v8, 0
	s_mov_b32 s0, 0x3c439041
	v_mad_u64_u32 v[9:10], s[0:1], v15, s0, v[7:8]
	s_mov_b32 s0, 0xdb629599
	v_add_u32_e32 v14, 0xffffff88, v2
	v_mov_b32_e32 v7, v10
	v_mad_u64_u32 v[10:11], s[0:1], v15, s0, v[7:8]
	s_mov_b32 s0, 0xf534ddc0
	v_not_b32_e32 v16, 63
	v_mov_b32_e32 v7, v11
	v_mad_u64_u32 v[11:12], s[0:1], v15, s0, v[7:8]
	s_mov_b32 s0, 0xfc2757d1
	v_cmp_lt_u32_e32 vcc, 63, v14
	v_mov_b32_e32 v7, v12
	v_mad_u64_u32 v[12:13], s[0:1], v15, s0, v[7:8]
	v_cndmask_b32_e32 v7, 0, v16, vcc
	v_add_u32_e32 v16, v7, v14
	v_mov_b32_e32 v7, v13
	s_mov_b32 s0, 0x4e441529
	v_mad_u64_u32 v[13:14], s[0:1], v15, s0, v[7:8]
	v_not_b32_e32 v17, 31
	v_cmp_lt_u32_e64 s[0:1], 31, v16
	v_cndmask_b32_e64 v7, 0, v17, s[0:1]
	v_add_u32_e32 v16, v7, v16
	v_mov_b32_e32 v7, v14
	s_mov_b32 s2, 0xa2f9836e
	v_mad_u64_u32 v[7:8], s[2:3], v15, s2, v[7:8]
	v_cmp_lt_u32_e64 s[2:3], 31, v16
	v_cndmask_b32_e64 v14, 0, v17, s[2:3]
	v_cndmask_b32_e32 v15, v13, v11, vcc
	v_cndmask_b32_e32 v7, v7, v12, vcc
	;; [unrolled: 1-line block ×3, first 2 shown]
	v_add_u32_e32 v14, v14, v16
	v_cndmask_b32_e64 v16, v7, v15, s[0:1]
	v_cndmask_b32_e64 v7, v8, v7, s[0:1]
	v_cndmask_b32_e32 v8, v12, v10, vcc
	v_cndmask_b32_e64 v12, v15, v8, s[0:1]
	v_cndmask_b32_e32 v9, v11, v9, vcc
	v_cndmask_b32_e64 v7, v7, v16, s[2:3]
	v_cndmask_b32_e64 v13, v16, v12, s[2:3]
	v_sub_u32_e32 v15, 32, v14
	v_cndmask_b32_e64 v8, v8, v9, s[0:1]
	v_alignbit_b32 v16, v7, v13, v15
	v_cmp_eq_u32_e64 s[4:5], 0, v14
	v_cndmask_b32_e64 v11, v12, v8, s[2:3]
	v_cndmask_b32_e64 v7, v16, v7, s[4:5]
	v_alignbit_b32 v12, v13, v11, v15
	v_cndmask_b32_e32 v6, v10, v6, vcc
	v_cndmask_b32_e64 v12, v12, v13, s[4:5]
	v_bfe_u32 v16, v7, 29, 1
	v_cndmask_b32_e64 v6, v9, v6, s[0:1]
	v_alignbit_b32 v13, v7, v12, 30
	v_sub_u32_e32 v17, 0, v16
	v_cndmask_b32_e64 v6, v8, v6, s[2:3]
	v_xor_b32_e32 v13, v13, v17
	v_alignbit_b32 v8, v11, v6, v15
	v_cndmask_b32_e64 v8, v8, v11, s[4:5]
	v_ffbh_u32_e32 v10, v13
	v_alignbit_b32 v9, v12, v8, 30
	v_min_u32_e32 v10, 32, v10
	v_alignbit_b32 v6, v8, v6, 30
	v_xor_b32_e32 v9, v9, v17
	v_sub_u32_e32 v11, 31, v10
	v_xor_b32_e32 v6, v6, v17
	v_alignbit_b32 v12, v13, v9, v11
	v_alignbit_b32 v6, v9, v6, v11
	;; [unrolled: 1-line block ×3, first 2 shown]
	v_ffbh_u32_e32 v9, v8
	v_min_u32_e32 v9, 32, v9
	v_lshrrev_b32_e32 v14, 29, v7
	v_not_b32_e32 v11, v9
	v_alignbit_b32 v6, v8, v6, v11
	v_lshlrev_b32_e32 v8, 31, v14
	v_or_b32_e32 v11, 0x33000000, v8
	v_add_lshl_u32 v9, v9, v10, 23
	v_lshrrev_b32_e32 v6, 9, v6
	v_sub_u32_e32 v9, v11, v9
	v_or_b32_e32 v8, 0.5, v8
	v_lshlrev_b32_e32 v10, 23, v10
	v_or_b32_e32 v6, v9, v6
	v_lshrrev_b32_e32 v9, 9, v12
	v_sub_u32_e32 v8, v8, v10
	v_or_b32_e32 v8, v9, v8
	s_mov_b32 s0, 0x3fc90fda
	v_mul_f32_e32 v9, 0x3fc90fda, v8
	v_fma_f32 v10, v8, s0, -v9
	v_fmac_f32_e32 v10, 0x33a22168, v8
	v_fmac_f32_e32 v10, 0x3fc90fda, v6
	v_lshrrev_b32_e32 v7, 30, v7
	v_add_f32_e32 v6, v9, v10
	v_add_u32_e32 v7, v16, v7
	s_andn2_saveexec_b64 s[0:1], s[12:13]
	s_cbranch_execz .LBB21_14
	s_branch .LBB21_13
.LBB21_12:
	s_andn2_saveexec_b64 s[0:1], s[12:13]
	s_cbranch_execz .LBB21_14
.LBB21_13:
	s_mov_b32 s2, 0x3f22f983
	v_mul_f32_e64 v6, |v3|, s2
	v_rndne_f32_e32 v8, v6
	s_mov_b32 s2, 0xbfc90fda
	v_cvt_i32_f32_e32 v7, v8
	v_fma_f32 v6, v8, s2, |v3|
	v_fmac_f32_e32 v6, 0xb3a22168, v8
	v_fmac_f32_e32 v6, 0xa7c234c4, v8
.LBB21_14:
	s_or_b64 exec, exec, s[0:1]
                                        ; implicit-def: $vgpr9
                                        ; implicit-def: $vgpr8
	s_and_saveexec_b64 s[0:1], s[6:7]
	s_xor_b64 s[6:7], exec, s[0:1]
	s_cbranch_execz .LBB21_16
; %bb.15:
	v_and_b32_e32 v8, 0x7fffff, v5
	v_or_b32_e32 v17, 0x800000, v8
	s_mov_b32 s0, 0xfe5163ab
	v_mad_u64_u32 v[8:9], s[0:1], v17, s0, 0
	v_mov_b32_e32 v10, 0
	s_mov_b32 s0, 0x3c439041
	v_mad_u64_u32 v[11:12], s[0:1], v17, s0, v[9:10]
	s_mov_b32 s0, 0xdb629599
	v_add_u32_e32 v2, 0xffffff88, v2
	v_mov_b32_e32 v9, v12
	v_mad_u64_u32 v[12:13], s[0:1], v17, s0, v[9:10]
	s_mov_b32 s0, 0xf534ddc0
	v_not_b32_e32 v16, 63
	v_mov_b32_e32 v9, v13
	v_mad_u64_u32 v[13:14], s[0:1], v17, s0, v[9:10]
	s_mov_b32 s0, 0xfc2757d1
	v_cmp_lt_u32_e32 vcc, 63, v2
	v_mov_b32_e32 v9, v14
	v_mad_u64_u32 v[14:15], s[0:1], v17, s0, v[9:10]
	v_cndmask_b32_e32 v9, 0, v16, vcc
	v_add_u32_e32 v2, v9, v2
	v_mov_b32_e32 v9, v15
	s_mov_b32 s0, 0x4e441529
	v_mad_u64_u32 v[15:16], s[0:1], v17, s0, v[9:10]
	v_not_b32_e32 v18, 31
	v_cmp_lt_u32_e64 s[0:1], 31, v2
	v_cndmask_b32_e64 v9, 0, v18, s[0:1]
	v_add_u32_e32 v2, v9, v2
	v_mov_b32_e32 v9, v16
	s_mov_b32 s2, 0xa2f9836e
	v_mad_u64_u32 v[9:10], s[2:3], v17, s2, v[9:10]
	v_cmp_lt_u32_e64 s[2:3], 31, v2
	v_cndmask_b32_e64 v16, 0, v18, s[2:3]
	v_add_u32_e32 v2, v16, v2
	v_cndmask_b32_e32 v16, v15, v13, vcc
	v_cndmask_b32_e32 v9, v9, v14, vcc
	;; [unrolled: 1-line block ×3, first 2 shown]
	v_cndmask_b32_e64 v17, v9, v16, s[0:1]
	v_cndmask_b32_e64 v9, v10, v9, s[0:1]
	v_cndmask_b32_e32 v10, v14, v12, vcc
	v_cndmask_b32_e64 v14, v16, v10, s[0:1]
	v_cndmask_b32_e64 v9, v9, v17, s[2:3]
	;; [unrolled: 1-line block ×3, first 2 shown]
	v_sub_u32_e32 v16, 32, v2
	v_alignbit_b32 v17, v9, v15, v16
	v_cmp_eq_u32_e64 s[4:5], 0, v2
	v_cndmask_b32_e64 v2, v17, v9, s[4:5]
	v_cndmask_b32_e32 v9, v13, v11, vcc
	v_cndmask_b32_e64 v10, v10, v9, s[0:1]
	v_cndmask_b32_e64 v11, v14, v10, s[2:3]
	v_alignbit_b32 v13, v15, v11, v16
	v_cndmask_b32_e32 v8, v12, v8, vcc
	v_cndmask_b32_e64 v13, v13, v15, s[4:5]
	v_bfe_u32 v17, v2, 29, 1
	v_cndmask_b32_e64 v8, v9, v8, s[0:1]
	v_alignbit_b32 v14, v2, v13, 30
	v_sub_u32_e32 v18, 0, v17
	v_cndmask_b32_e64 v8, v10, v8, s[2:3]
	v_xor_b32_e32 v14, v14, v18
	v_alignbit_b32 v9, v11, v8, v16
	v_cndmask_b32_e64 v9, v9, v11, s[4:5]
	v_ffbh_u32_e32 v11, v14
	v_alignbit_b32 v10, v13, v9, 30
	v_min_u32_e32 v11, 32, v11
	v_alignbit_b32 v8, v9, v8, 30
	v_xor_b32_e32 v10, v10, v18
	v_sub_u32_e32 v12, 31, v11
	v_xor_b32_e32 v8, v8, v18
	v_alignbit_b32 v13, v14, v10, v12
	v_alignbit_b32 v8, v10, v8, v12
	;; [unrolled: 1-line block ×3, first 2 shown]
	v_ffbh_u32_e32 v10, v9
	v_min_u32_e32 v10, 32, v10
	v_lshrrev_b32_e32 v15, 29, v2
	v_not_b32_e32 v12, v10
	v_alignbit_b32 v8, v9, v8, v12
	v_lshlrev_b32_e32 v9, 31, v15
	v_or_b32_e32 v12, 0x33000000, v9
	v_add_lshl_u32 v10, v10, v11, 23
	v_lshrrev_b32_e32 v8, 9, v8
	v_sub_u32_e32 v10, v12, v10
	v_or_b32_e32 v9, 0.5, v9
	v_lshlrev_b32_e32 v11, 23, v11
	v_or_b32_e32 v8, v10, v8
	v_lshrrev_b32_e32 v10, 9, v13
	v_sub_u32_e32 v9, v9, v11
	v_or_b32_e32 v9, v10, v9
	s_mov_b32 s0, 0x3fc90fda
	v_mul_f32_e32 v10, 0x3fc90fda, v9
	v_fma_f32 v11, v9, s0, -v10
	v_fmac_f32_e32 v11, 0x33a22168, v9
	v_fmac_f32_e32 v11, 0x3fc90fda, v8
	v_lshrrev_b32_e32 v2, 30, v2
	v_add_f32_e32 v8, v10, v11
	v_add_u32_e32 v9, v17, v2
	s_andn2_saveexec_b64 s[0:1], s[6:7]
	s_cbranch_execnz .LBB21_17
	s_branch .LBB21_18
.LBB21_16:
	s_andn2_saveexec_b64 s[0:1], s[6:7]
	s_cbranch_execz .LBB21_18
.LBB21_17:
	s_mov_b32 s2, 0x3f22f983
	v_mul_f32_e64 v2, |v3|, s2
	v_rndne_f32_e32 v2, v2
	s_mov_b32 s2, 0xbfc90fda
	v_cvt_i32_f32_e32 v9, v2
	v_fma_f32 v8, v2, s2, |v3|
	v_fmac_f32_e32 v8, 0xb3a22168, v2
	v_fmac_f32_e32 v8, 0xa7c234c4, v2
.LBB21_18:
	s_or_b64 exec, exec, s[0:1]
	v_ashrrev_i32_e32 v2, 31, v1
	s_lshr_b32 s0, s17, 31
	v_lshlrev_b64 v[1:2], 2, v[1:2]
	s_add_i32 s0, s17, s0
	s_ashr_i32 s0, s0, 1
	v_mov_b32_e32 v10, s9
	v_add_co_u32_e32 v1, vcc, s8, v1
	s_ashr_i32 s1, s0, 31
	v_addc_co_u32_e32 v2, vcc, v10, v2, vcc
	s_lshl_b64 s[0:1], s[0:1], 2
	v_mov_b32_e32 v12, s1
	v_add_co_u32_e32 v10, vcc, s0, v1
	v_addc_co_u32_e32 v11, vcc, v2, v12, vcc
	global_load_dword v13, v[1:2], off
	global_load_dword v14, v[10:11], off
	v_ashrrev_i32_e32 v1, 31, v0
	v_lshlrev_b64 v[0:1], 2, v[0:1]
	v_mov_b32_e32 v17, s11
	v_add_co_u32_e32 v0, vcc, s10, v0
	v_mul_f32_e32 v2, v6, v6
	v_mov_b32_e32 v16, 0xbab64f3b
	v_addc_co_u32_e32 v1, vcc, v17, v1, vcc
	v_mov_b32_e32 v17, 0xbab64f3b
	v_mul_f32_e32 v19, v8, v8
	v_mov_b32_e32 v10, 0x3c0881c4
	v_mov_b32_e32 v11, 0x3c0881c4
	;; [unrolled: 1-line block ×3, first 2 shown]
	v_fmac_f32_e32 v17, 0x37d75334, v2
	v_fmac_f32_e32 v16, 0x37d75334, v19
	v_mov_b32_e32 v15, 0xbe2aaa9d
	v_fmac_f32_e32 v11, 0xb94c1982, v2
	v_fmac_f32_e32 v10, 0xb94c1982, v19
	v_fma_f32 v17, v2, v17, v18
	v_fmac_f32_e32 v18, v19, v16
	v_lshlrev_b32_e32 v16, 30, v9
	v_fma_f32 v11, v2, v11, v15
	v_fmac_f32_e32 v15, v19, v10
	v_mov_b32_e32 v10, 0xbf000004
	v_xor_b32_e32 v5, v5, v3
	v_and_b32_e32 v16, 0x80000000, v16
	v_xor_b32_e32 v5, v5, v16
	v_and_b32_e32 v16, 1, v7
	v_fma_f32 v17, v2, v17, v10
	v_mul_f32_e32 v11, v2, v11
	v_fmac_f32_e32 v10, v19, v18
	v_and_b32_e32 v9, 1, v9
	v_mul_f32_e32 v15, v19, v15
	v_fmac_f32_e32 v6, v6, v11
	v_fma_f32 v2, v2, v17, 1.0
	v_cmp_eq_u32_e32 vcc, 0, v16
	v_lshlrev_b32_e32 v7, 30, v7
	v_fmac_f32_e32 v8, v8, v15
	v_fma_f32 v10, v19, v10, 1.0
	v_cndmask_b32_e64 v2, -v6, v2, vcc
	v_cmp_eq_u32_e32 vcc, 0, v9
	v_and_b32_e32 v7, 0x80000000, v7
	v_cndmask_b32_e32 v6, v10, v8, vcc
	v_xor_b32_e32 v2, v7, v2
	v_xor_b32_e32 v7, v5, v6
	v_add_co_u32_e32 v5, vcc, s0, v0
	s_movk_i32 s1, 0x1f8
	v_addc_co_u32_e32 v6, vcc, v1, v12, vcc
	v_mov_b32_e32 v18, 0x7fc00000
	v_cmp_class_f32_e64 vcc, v3, s1
	v_cndmask_b32_e32 v3, v18, v7, vcc
	v_cndmask_b32_e32 v2, v18, v2, vcc
	v_mul_f32_e64 v3, v3, -v4
	v_mul_f32_e32 v2, v4, v2
	s_waitcnt vmcnt(1)
	v_mul_f32_e32 v4, v13, v3
	s_waitcnt vmcnt(0)
	v_mul_f32_e32 v3, v14, v3
	v_fmac_f32_e32 v4, v2, v14
	v_fma_f32 v2, v2, v13, -v3
	global_store_dword v[0:1], v2, off
	global_store_dword v[5:6], v4, off
.LBB21_19:
	s_endpgm
	.section	.rodata,"a",@progbits
	.p2align	6, 0x0
	.amdhsa_kernel _ZL9rope_neoxILb0ELb1EffEvPKT1_PT2_iiiiiiiiiiPKifff14rope_corr_dimsfPKfPKli
		.amdhsa_group_segment_fixed_size 0
		.amdhsa_private_segment_fixed_size 0
		.amdhsa_kernarg_size 368
		.amdhsa_user_sgpr_count 6
		.amdhsa_user_sgpr_private_segment_buffer 1
		.amdhsa_user_sgpr_dispatch_ptr 0
		.amdhsa_user_sgpr_queue_ptr 0
		.amdhsa_user_sgpr_kernarg_segment_ptr 1
		.amdhsa_user_sgpr_dispatch_id 0
		.amdhsa_user_sgpr_flat_scratch_init 0
		.amdhsa_user_sgpr_private_segment_size 0
		.amdhsa_uses_dynamic_stack 0
		.amdhsa_system_sgpr_private_segment_wavefront_offset 0
		.amdhsa_system_sgpr_workgroup_id_x 1
		.amdhsa_system_sgpr_workgroup_id_y 1
		.amdhsa_system_sgpr_workgroup_id_z 0
		.amdhsa_system_sgpr_workgroup_info 0
		.amdhsa_system_vgpr_workitem_id 1
		.amdhsa_next_free_vgpr 20
		.amdhsa_next_free_sgpr 18
		.amdhsa_reserve_vcc 1
		.amdhsa_reserve_flat_scratch 0
		.amdhsa_float_round_mode_32 0
		.amdhsa_float_round_mode_16_64 0
		.amdhsa_float_denorm_mode_32 3
		.amdhsa_float_denorm_mode_16_64 3
		.amdhsa_dx10_clamp 1
		.amdhsa_ieee_mode 1
		.amdhsa_fp16_overflow 0
		.amdhsa_exception_fp_ieee_invalid_op 0
		.amdhsa_exception_fp_denorm_src 0
		.amdhsa_exception_fp_ieee_div_zero 0
		.amdhsa_exception_fp_ieee_overflow 0
		.amdhsa_exception_fp_ieee_underflow 0
		.amdhsa_exception_fp_ieee_inexact 0
		.amdhsa_exception_int_div_zero 0
	.end_amdhsa_kernel
	.section	.text._ZL9rope_neoxILb0ELb1EffEvPKT1_PT2_iiiiiiiiiiPKifff14rope_corr_dimsfPKfPKli,"axG",@progbits,_ZL9rope_neoxILb0ELb1EffEvPKT1_PT2_iiiiiiiiiiPKifff14rope_corr_dimsfPKfPKli,comdat
.Lfunc_end21:
	.size	_ZL9rope_neoxILb0ELb1EffEvPKT1_PT2_iiiiiiiiiiPKifff14rope_corr_dimsfPKfPKli, .Lfunc_end21-_ZL9rope_neoxILb0ELb1EffEvPKT1_PT2_iiiiiiiiiiPKifff14rope_corr_dimsfPKfPKli
                                        ; -- End function
	.set _ZL9rope_neoxILb0ELb1EffEvPKT1_PT2_iiiiiiiiiiPKifff14rope_corr_dimsfPKfPKli.num_vgpr, 20
	.set _ZL9rope_neoxILb0ELb1EffEvPKT1_PT2_iiiiiiiiiiPKifff14rope_corr_dimsfPKfPKli.num_agpr, 0
	.set _ZL9rope_neoxILb0ELb1EffEvPKT1_PT2_iiiiiiiiiiPKifff14rope_corr_dimsfPKfPKli.numbered_sgpr, 18
	.set _ZL9rope_neoxILb0ELb1EffEvPKT1_PT2_iiiiiiiiiiPKifff14rope_corr_dimsfPKfPKli.num_named_barrier, 0
	.set _ZL9rope_neoxILb0ELb1EffEvPKT1_PT2_iiiiiiiiiiPKifff14rope_corr_dimsfPKfPKli.private_seg_size, 0
	.set _ZL9rope_neoxILb0ELb1EffEvPKT1_PT2_iiiiiiiiiiPKifff14rope_corr_dimsfPKfPKli.uses_vcc, 1
	.set _ZL9rope_neoxILb0ELb1EffEvPKT1_PT2_iiiiiiiiiiPKifff14rope_corr_dimsfPKfPKli.uses_flat_scratch, 0
	.set _ZL9rope_neoxILb0ELb1EffEvPKT1_PT2_iiiiiiiiiiPKifff14rope_corr_dimsfPKfPKli.has_dyn_sized_stack, 0
	.set _ZL9rope_neoxILb0ELb1EffEvPKT1_PT2_iiiiiiiiiiPKifff14rope_corr_dimsfPKfPKli.has_recursion, 0
	.set _ZL9rope_neoxILb0ELb1EffEvPKT1_PT2_iiiiiiiiiiPKifff14rope_corr_dimsfPKfPKli.has_indirect_call, 0
	.section	.AMDGPU.csdata,"",@progbits
; Kernel info:
; codeLenInByte = 3896
; TotalNumSgprs: 22
; NumVgprs: 20
; ScratchSize: 0
; MemoryBound: 0
; FloatMode: 240
; IeeeMode: 1
; LDSByteSize: 0 bytes/workgroup (compile time only)
; SGPRBlocks: 2
; VGPRBlocks: 4
; NumSGPRsForWavesPerEU: 22
; NumVGPRsForWavesPerEU: 20
; Occupancy: 10
; WaveLimiterHint : 0
; COMPUTE_PGM_RSRC2:SCRATCH_EN: 0
; COMPUTE_PGM_RSRC2:USER_SGPR: 6
; COMPUTE_PGM_RSRC2:TRAP_HANDLER: 0
; COMPUTE_PGM_RSRC2:TGID_X_EN: 1
; COMPUTE_PGM_RSRC2:TGID_Y_EN: 1
; COMPUTE_PGM_RSRC2:TGID_Z_EN: 0
; COMPUTE_PGM_RSRC2:TIDIG_COMP_CNT: 1
	.section	.text._ZL9rope_neoxILb0ELb0Ef6__halfEvPKT1_PT2_iiiiiiiiiiPKifff14rope_corr_dimsfPKfPKli,"axG",@progbits,_ZL9rope_neoxILb0ELb0Ef6__halfEvPKT1_PT2_iiiiiiiiiiPKifff14rope_corr_dimsfPKfPKli,comdat
	.globl	_ZL9rope_neoxILb0ELb0Ef6__halfEvPKT1_PT2_iiiiiiiiiiPKifff14rope_corr_dimsfPKfPKli ; -- Begin function _ZL9rope_neoxILb0ELb0Ef6__halfEvPKT1_PT2_iiiiiiiiiiPKifff14rope_corr_dimsfPKfPKli
	.p2align	8
	.type	_ZL9rope_neoxILb0ELb0Ef6__halfEvPKT1_PT2_iiiiiiiiiiPKifff14rope_corr_dimsfPKfPKli,@function
_ZL9rope_neoxILb0ELb0Ef6__halfEvPKT1_PT2_iiiiiiiiiiPKifff14rope_corr_dimsfPKfPKli: ; @_ZL9rope_neoxILb0ELb0Ef6__halfEvPKT1_PT2_iiiiiiiiiiPKifff14rope_corr_dimsfPKfPKli
; %bb.0:
	s_load_dword s2, s[4:5], 0x7c
	s_load_dwordx8 s[8:15], s[4:5], 0x10
	s_add_u32 s0, s4, 0x70
	s_addc_u32 s1, s5, 0
	s_waitcnt lgkmcnt(0)
	s_lshr_b32 s2, s2, 16
	s_mul_i32 s7, s7, s2
	v_add_lshl_u32 v5, s7, v1, 1
	v_cmp_gt_i32_e32 vcc, s8, v5
	s_and_saveexec_b64 s[2:3], vcc
	s_cbranch_execz .LBB22_19
; %bb.1:
	s_mul_i32 s2, s10, s9
	s_abs_i32 s3, s2
	v_cvt_f32_u32_e32 v1, s3
	s_load_dword s0, s[0:1], 0xc
	s_sub_i32 s1, 0, s3
	v_cvt_f32_u32_e32 v2, s9
	v_rcp_iflag_f32_e32 v1, v1
	s_waitcnt lgkmcnt(0)
	s_and_b32 s0, s0, 0xffff
	s_mul_i32 s6, s6, s0
	v_mul_f32_e32 v1, 0x4f7ffffe, v1
	v_cvt_u32_f32_e32 v1, v1
	v_add_u32_e32 v0, s6, v0
	v_sub_u32_e32 v4, 0, v0
	v_max_i32_e32 v4, v0, v4
	v_mul_lo_u32 v3, s1, v1
	v_rcp_iflag_f32_e32 v2, v2
	s_sub_i32 s0, 0, s9
	v_xor_b32_e32 v6, s2, v0
	v_mul_hi_u32 v3, v1, v3
	v_mul_f32_e32 v2, 0x4f7ffffe, v2
	v_cvt_u32_f32_e32 v2, v2
	v_ashrrev_i32_e32 v6, 31, v6
	v_add_u32_e32 v1, v1, v3
	v_mul_hi_u32 v1, v4, v1
	v_mul_lo_u32 v3, s0, v2
	s_load_dword s0, s[4:5], 0x68
	s_load_dwordx2 s[6:7], s[4:5], 0x30
	v_mul_lo_u32 v7, v1, s3
	v_add_u32_e32 v8, 1, v1
	v_mul_hi_u32 v3, v2, v3
	s_waitcnt lgkmcnt(0)
	s_cmp_eq_u32 s0, 0
	v_sub_u32_e32 v4, v4, v7
	v_cmp_le_u32_e32 vcc, s3, v4
	v_subrev_u32_e32 v7, s3, v4
	v_cndmask_b32_e32 v1, v1, v8, vcc
	v_cndmask_b32_e32 v4, v4, v7, vcc
	v_add_u32_e32 v7, 1, v1
	v_cmp_le_u32_e32 vcc, s3, v4
	v_cndmask_b32_e32 v1, v1, v7, vcc
	v_xor_b32_e32 v1, v1, v6
	v_sub_u32_e32 v6, v1, v6
	v_mul_lo_u32 v1, s2, v6
	v_add_u32_e32 v2, v2, v3
	v_sub_u32_e32 v7, v0, v1
	v_mul_hi_u32 v0, v7, v2
	v_mul_lo_u32 v1, v0, s9
	v_add_u32_e32 v2, 1, v0
	v_sub_u32_e32 v1, v7, v1
	v_cmp_le_u32_e32 vcc, s9, v1
	v_cndmask_b32_e32 v0, v0, v2, vcc
	v_subrev_u32_e32 v2, s9, v1
	v_cndmask_b32_e32 v1, v1, v2, vcc
	v_add_u32_e32 v2, 1, v0
	v_cmp_le_u32_e32 vcc, s9, v1
	v_cndmask_b32_e32 v3, v0, v2, vcc
	s_cbranch_scc1 .LBB22_3
; %bb.2:
	s_load_dwordx2 s[2:3], s[4:5], 0x60
	v_mov_b32_e32 v4, 0
	v_lshlrev_b64 v[0:1], 3, v[3:4]
	s_waitcnt lgkmcnt(0)
	v_mov_b32_e32 v2, s3
	v_add_co_u32_e32 v0, vcc, s2, v0
	v_addc_co_u32_e32 v1, vcc, v2, v1, vcc
	global_load_dword v0, v[0:1], off
	s_waitcnt vmcnt(0)
	v_mul_lo_u32 v0, s0, v0
	s_branch .LBB22_4
.LBB22_3:
	v_mul_lo_u32 v0, v6, s6
	v_mad_u64_u32 v[0:1], s[0:1], v3, s15, v[0:1]
.LBB22_4:
	v_mul_lo_u32 v1, v3, s9
	v_ashrrev_i32_e32 v2, 1, v5
	v_mul_lo_u32 v4, v3, s12
	v_cmp_le_i32_e32 vcc, s7, v5
	v_sub_u32_e32 v1, v7, v1
	v_mad_u64_u32 v[6:7], s[0:1], v6, s13, v[2:3]
	v_mul_lo_u32 v8, v1, s11
	v_mul_lo_u32 v7, v1, s14
	s_load_dwordx4 s[8:11], s[4:5], 0x0
	v_add3_u32 v1, v6, v4, v8
	v_add3_u32 v0, v7, v2, v0
	s_and_saveexec_b64 s[0:1], vcc
	s_xor_b64 s[0:1], exec, s[0:1]
	s_cbranch_execz .LBB22_6
; %bb.5:
	v_add_u32_e32 v3, v1, v2
	v_ashrrev_i32_e32 v4, 31, v3
	v_lshlrev_b64 v[3:4], 2, v[3:4]
	s_waitcnt lgkmcnt(0)
	v_mov_b32_e32 v1, s9
	v_add_co_u32_e32 v3, vcc, s8, v3
	v_addc_co_u32_e32 v4, vcc, v1, v4, vcc
	global_load_dword v5, v[3:4], off
	v_add_u32_e32 v0, v0, v2
	v_ashrrev_i32_e32 v1, 31, v0
	v_lshlrev_b64 v[0:1], 1, v[0:1]
	v_mov_b32_e32 v2, s11
	v_add_co_u32_e32 v0, vcc, s10, v0
	v_addc_co_u32_e32 v1, vcc, v2, v1, vcc
	s_waitcnt vmcnt(0)
	v_cvt_f16_f32_e32 v5, v5
	global_store_short v[0:1], v5, off
	global_load_dword v2, v[3:4], off offset:4
                                        ; implicit-def: $vgpr3
                                        ; implicit-def: $vgpr5
	s_waitcnt vmcnt(0)
	v_cvt_f16_f32_e32 v2, v2
	global_store_short v[0:1], v2, off offset:2
                                        ; implicit-def: $vgpr1
                                        ; implicit-def: $vgpr0
                                        ; implicit-def: $vgpr2
.LBB22_6:
	s_andn2_saveexec_b64 s[0:1], s[0:1]
	s_cbranch_execz .LBB22_19
; %bb.7:
	s_load_dwordx2 s[0:1], s[4:5], 0x38
	v_mov_b32_e32 v4, 0
	v_lshlrev_b64 v[3:4], 2, v[3:4]
	v_mov_b32_e32 v9, 0x3ecccdef
	s_brev_b32 s6, -2
	s_waitcnt lgkmcnt(0)
	v_mov_b32_e32 v6, s1
	v_add_co_u32_e32 v3, vcc, s0, v3
	v_addc_co_u32_e32 v4, vcc, v6, v4, vcc
	global_load_dword v6, v[3:4], off
	s_load_dwordx4 s[12:15], s[4:5], 0x40
	s_load_dwordx2 s[16:17], s[4:5], 0x50
	v_cvt_f32_i32_e32 v3, v5
	s_mov_b32 s0, 0x3f2aaaab
	v_mov_b32_e32 v5, 0x3e91f4c4
	s_mov_b32 s1, 0x3f317218
	v_mul_f32_e32 v3, 0.5, v3
	s_waitcnt lgkmcnt(0)
	v_cmp_neq_f32_e64 vcc, s17, 1.0
	v_cndmask_b32_e32 v4, 1.0, v3, vcc
	v_mov_b32_e32 v3, s17
	v_cmp_neq_f32_e32 vcc, 0, v4
	v_cndmask_b32_e32 v3, 1.0, v3, vcc
	v_frexp_mant_f32_e64 v10, |v3|
	v_cmp_gt_f32_e32 vcc, s0, v10
	v_cndmask_b32_e64 v11, 1.0, 2.0, vcc
	v_mul_f32_e32 v10, v10, v11
	v_add_f32_e32 v12, 1.0, v10
	v_cvt_f64_f32_e64 v[7:8], |v3|
	v_rcp_f32_e32 v13, v12
	v_add_f32_e32 v11, -1.0, v10
	v_add_f32_e32 v14, -1.0, v12
	v_frexp_exp_i32_f64_e32 v7, v[7:8]
	v_sub_f32_e32 v8, v10, v14
	v_mul_f32_e32 v10, v11, v13
	v_mul_f32_e32 v14, v12, v10
	v_fma_f32 v12, v10, v12, -v14
	v_fmac_f32_e32 v12, v10, v8
	v_add_f32_e32 v8, v14, v12
	v_sub_f32_e32 v15, v11, v8
	v_sub_f32_e32 v14, v8, v14
	;; [unrolled: 1-line block ×5, first 2 shown]
	v_add_f32_e32 v8, v12, v8
	v_add_f32_e32 v8, v15, v8
	v_mul_f32_e32 v8, v13, v8
	v_add_f32_e32 v12, v10, v8
	v_sub_f32_e32 v10, v12, v10
	v_mul_f32_e32 v13, v12, v12
	v_sub_f32_e32 v8, v8, v10
	v_fma_f32 v10, v12, v12, -v13
	v_add_f32_e32 v14, v8, v8
	v_fmac_f32_e32 v10, v12, v14
	v_add_f32_e32 v14, v13, v10
	v_fmac_f32_e32 v5, 0x3e76c4e1, v14
	v_sub_f32_e32 v13, v14, v13
	v_mul_f32_e32 v15, v12, v14
	v_fmac_f32_e32 v9, v14, v5
	v_sub_f32_e32 v5, v10, v13
	v_fma_f32 v10, v14, v12, -v15
	v_fmac_f32_e32 v10, v14, v8
	v_mul_f32_e32 v13, v14, v9
	v_fmac_f32_e32 v10, v5, v12
	v_fma_f32 v14, v14, v9, -v13
	v_add_f32_e32 v16, v15, v10
	v_fmac_f32_e32 v14, v5, v9
	v_sub_f32_e32 v5, v16, v15
	v_add_f32_e32 v9, v13, v14
	v_sub_f32_e32 v5, v10, v5
	v_add_f32_e32 v10, 0x3f2aaaaa, v9
	v_sub_f32_e32 v13, v9, v13
	v_sub_f32_e32 v13, v14, v13
	v_add_f32_e32 v14, 0xbf2aaaaa, v10
	v_subbrev_co_u32_e32 v7, vcc, 0, v7, vcc
	v_add_f32_e32 v13, 0x31739010, v13
	v_sub_f32_e32 v9, v9, v14
	v_cvt_f32_i32_e32 v7, v7
	v_add_f32_e32 v9, v13, v9
	v_add_f32_e32 v13, v10, v9
	v_sub_f32_e32 v10, v10, v13
	v_mul_f32_e32 v14, v16, v13
	v_add_f32_e32 v9, v9, v10
	v_fma_f32 v10, v16, v13, -v14
	v_mul_f32_e32 v11, 0x3f317218, v7
	v_fmac_f32_e32 v10, v16, v9
	v_fmac_f32_e32 v10, v5, v13
	s_movk_i32 s5, 0x204
	s_mov_b32 s0, 0x42b17218
	s_mov_b32 s4, 0x7f800000
	s_waitcnt vmcnt(0)
	v_cvt_f32_i32_e32 v5, v6
	v_fma_f32 v6, v7, s1, -v11
	v_fmac_f32_e32 v6, 0xb102e308, v7
	v_add_f32_e32 v9, v11, v6
	v_sub_f32_e32 v11, v9, v11
	v_sub_f32_e32 v6, v6, v11
	v_add_f32_e32 v11, v14, v10
	v_ldexp_f32 v7, v8, 1
	v_ldexp_f32 v8, v12, 1
	v_sub_f32_e32 v12, v11, v14
	v_sub_f32_e32 v10, v10, v12
	v_add_f32_e32 v12, v8, v11
	v_sub_f32_e32 v8, v12, v8
	v_sub_f32_e32 v8, v11, v8
	v_add_f32_e32 v7, v7, v10
	v_add_f32_e32 v7, v7, v8
	;; [unrolled: 1-line block ×3, first 2 shown]
	v_sub_f32_e32 v10, v8, v12
	v_sub_f32_e32 v7, v7, v10
	v_add_f32_e32 v10, v9, v8
	v_sub_f32_e32 v11, v10, v9
	v_sub_f32_e32 v12, v10, v11
	;; [unrolled: 1-line block ×4, first 2 shown]
	v_add_f32_e32 v8, v8, v9
	v_add_f32_e32 v9, v6, v7
	v_sub_f32_e32 v11, v9, v6
	v_sub_f32_e32 v12, v9, v11
	v_sub_f32_e32 v6, v6, v12
	v_sub_f32_e32 v7, v7, v11
	v_add_f32_e32 v6, v7, v6
	v_add_f32_e32 v7, v9, v8
	;; [unrolled: 1-line block ×3, first 2 shown]
	v_sub_f32_e32 v9, v8, v10
	v_sub_f32_e32 v7, v7, v9
	v_add_f32_e32 v6, v6, v7
	v_add_f32_e32 v7, v8, v6
	v_sub_f32_e32 v8, v7, v8
	v_sub_f32_e32 v6, v6, v8
	v_mul_f32_e32 v8, v4, v7
	v_fma_f32 v7, v4, v7, -v8
	v_fmac_f32_e32 v7, v4, v6
	v_add_f32_e32 v6, v8, v7
	v_cmp_class_f32_e64 vcc, v8, s5
	v_sub_f32_e32 v9, v6, v8
	v_cndmask_b32_e32 v6, v6, v8, vcc
	v_mov_b32_e32 v8, 0x37000000
	v_cmp_eq_f32_e32 vcc, s0, v6
	v_cndmask_b32_e32 v8, 0, v8, vcc
	v_sub_f32_e32 v7, v7, v9
	v_sub_f32_e32 v9, v6, v8
	s_mov_b32 s1, 0x3fb8aa3b
	v_mul_f32_e32 v10, 0x3fb8aa3b, v9
	v_fma_f32 v11, v9, s1, -v10
	v_rndne_f32_e32 v12, v10
	v_fmac_f32_e32 v11, 0x32a5705f, v9
	v_sub_f32_e32 v10, v10, v12
	v_add_f32_e32 v10, v10, v11
	v_exp_f32_e32 v10, v10
	v_cvt_i32_f32_e32 v11, v12
	v_cmp_neq_f32_e64 vcc, |v6|, s4
	s_mov_b32 s1, 0xc2ce8ed0
	v_cndmask_b32_e32 v6, 0, v7, vcc
	v_ldexp_f32 v7, v10, v11
	v_cmp_ngt_f32_e32 vcc, s1, v9
	v_add_f32_e32 v6, v8, v6
	v_cndmask_b32_e32 v7, 0, v7, vcc
	v_mov_b32_e32 v8, 0x7f800000
	v_cmp_nlt_f32_e32 vcc, s0, v9
	v_cndmask_b32_e32 v7, v8, v7, vcc
	v_fma_f32 v6, v7, v6, v7
	v_cmp_class_f32_e64 vcc, v7, s5
	v_cndmask_b32_e32 v6, v6, v7, vcc
	v_trunc_f32_e32 v7, v4
	v_cmp_eq_f32_e32 vcc, v7, v4
	v_mul_f32_e32 v7, 0.5, v4
	v_trunc_f32_e32 v10, v7
	v_cmp_neq_f32_e64 s[0:1], v10, v7
	s_and_b64 s[0:1], vcc, s[0:1]
	v_cndmask_b32_e64 v7, 1.0, v3, s[0:1]
	v_mov_b32_e32 v9, 0x7fc00000
	v_bfi_b32 v6, s6, v6, v7
	v_cmp_neq_f32_e64 s[2:3], v4, |v4|
	v_cmp_lt_f32_e64 s[18:19], |v3|, 1.0
	v_cndmask_b32_e32 v7, v9, v6, vcc
	v_cmp_gt_f32_e32 vcc, 0, v3
	s_xor_b64 s[2:3], s[2:3], s[18:19]
	v_cndmask_b32_e32 v6, v6, v7, vcc
	v_cndmask_b32_e64 v7, v8, 0, s[2:3]
	v_cmp_neq_f32_e64 vcc, |v3|, 1.0
	v_cndmask_b32_e32 v7, 1.0, v7, vcc
	v_cmp_class_f32_e64 vcc, v4, s5
	v_cndmask_b32_e32 v6, v6, v7, vcc
	v_cmp_eq_f32_e32 vcc, 0, v3
	v_cmp_gt_f32_e64 s[2:3], 0, v4
	s_xor_b64 s[2:3], s[2:3], vcc
	v_cmp_class_f32_e64 s[18:19], v3, s5
	v_cndmask_b32_e64 v4, v8, 0, s[2:3]
	v_cndmask_b32_e64 v7, 0, v3, s[0:1]
	v_bfi_b32 v4, s6, v4, v7
	s_or_b64 vcc, vcc, s[18:19]
	v_cndmask_b32_e32 v4, v6, v4, vcc
	v_cmp_o_f32_e32 vcc, v3, v3
	v_cndmask_b32_e32 v3, v9, v4, vcc
	v_mul_f32_e32 v5, v3, v5
	v_cmp_eq_f32_e64 s[0:1], s13, 0
	v_mul_f32_e32 v3, s12, v5
	s_and_b64 vcc, exec, s[0:1]
	s_cbranch_vccnz .LBB22_9
; %bb.8:
	v_cvt_f32_i32_e32 v2, v2
	v_div_scale_f32 v6, s[0:1], s12, s12, 1.0
	v_mov_b32_e32 v4, s15
	v_sub_f32_e32 v4, s16, v4
	v_subrev_f32_e32 v2, s15, v2
	v_max_f32_e32 v4, 0x3a83126f, v4
	v_div_scale_f32 v7, s[0:1], v4, v4, v2
	v_div_scale_f32 v8, s[0:1], 1.0, s12, 1.0
	v_div_scale_f32 v9, vcc, v2, v4, v2
	s_mov_b32 s2, 0x3f317217
	v_rcp_f32_e32 v10, v6
	v_fma_f32 v11, -v6, v10, 1.0
	v_fmac_f32_e32 v10, v11, v10
	v_rcp_f32_e32 v12, v7
	v_mul_f32_e32 v11, v8, v10
	v_fma_f32 v13, -v6, v11, v8
	v_fmac_f32_e32 v11, v13, v10
	v_fma_f32 v13, -v7, v12, 1.0
	v_fmac_f32_e32 v12, v13, v12
	v_fma_f32 v6, -v6, v11, v8
	v_mul_f32_e32 v8, v9, v12
	v_fma_f32 v13, -v7, v8, v9
	v_fmac_f32_e32 v8, v13, v12
	v_fma_f32 v7, -v7, v8, v9
	v_div_fmas_f32 v7, v7, v12, v8
	s_mov_b64 vcc, s[0:1]
	v_div_fmas_f32 v6, v6, v10, v11
	s_mov_b32 s0, 0x800000
	v_mov_b32_e32 v8, 0x41b17218
	v_div_fixup_f32 v2, v7, v4, v2 clamp
	v_sub_f32_e32 v2, 1.0, v2
	v_div_fixup_f32 v4, v6, s12, 1.0
	v_cmp_gt_f32_e32 vcc, s0, v4
	s_and_b64 s[0:1], vcc, exec
	s_cselect_b32 s0, 32, 0
	v_ldexp_f32 v4, v4, s0
	v_log_f32_e32 v4, v4
	v_mul_f32_e32 v6, s13, v2
	v_fma_f32 v2, -s13, v2, 1.0
	v_mul_f32_e32 v3, v2, v3
	v_mul_f32_e32 v2, 0x3f317217, v4
	v_fma_f32 v2, v4, s2, -v2
	v_fmac_f32_e32 v2, 0x3377d1cf, v4
	v_cndmask_b32_e32 v7, 0, v8, vcc
	v_fmac_f32_e32 v2, 0x3f317217, v4
	v_cmp_lt_f32_e64 vcc, |v4|, s4
	v_cndmask_b32_e32 v2, v4, v2, vcc
	v_sub_f32_e32 v2, v2, v7
	s_mov_b32 s0, 0x3dcccccd
	v_fma_f32 v2, v2, s0, 1.0
	v_fmac_f32_e32 v3, v6, v5
	v_mul_f32_e32 v4, s14, v2
	s_branch .LBB22_10
.LBB22_9:
	v_mov_b32_e32 v4, s14
.LBB22_10:
	v_and_b32_e32 v5, 0x7fffffff, v3
	s_brev_b32 s0, 18
	v_cmp_nlt_f32_e64 s[12:13], |v3|, s0
	v_lshrrev_b32_e32 v2, 23, v5
                                        ; implicit-def: $vgpr7
                                        ; implicit-def: $vgpr6
	s_and_saveexec_b64 s[0:1], s[12:13]
	s_xor_b64 s[14:15], exec, s[0:1]
	s_cbranch_execz .LBB22_12
; %bb.11:
	v_and_b32_e32 v6, 0x7fffff, v5
	v_or_b32_e32 v15, 0x800000, v6
	s_mov_b32 s0, 0xfe5163ab
	v_mad_u64_u32 v[6:7], s[0:1], v15, s0, 0
	v_mov_b32_e32 v8, 0
	s_mov_b32 s0, 0x3c439041
	v_mad_u64_u32 v[9:10], s[0:1], v15, s0, v[7:8]
	s_mov_b32 s0, 0xdb629599
	v_add_u32_e32 v14, 0xffffff88, v2
	v_mov_b32_e32 v7, v10
	v_mad_u64_u32 v[10:11], s[0:1], v15, s0, v[7:8]
	s_mov_b32 s0, 0xf534ddc0
	v_not_b32_e32 v16, 63
	v_mov_b32_e32 v7, v11
	v_mad_u64_u32 v[11:12], s[0:1], v15, s0, v[7:8]
	s_mov_b32 s0, 0xfc2757d1
	v_cmp_lt_u32_e32 vcc, 63, v14
	v_mov_b32_e32 v7, v12
	v_mad_u64_u32 v[12:13], s[0:1], v15, s0, v[7:8]
	v_cndmask_b32_e32 v7, 0, v16, vcc
	v_add_u32_e32 v16, v7, v14
	v_mov_b32_e32 v7, v13
	s_mov_b32 s0, 0x4e441529
	v_mad_u64_u32 v[13:14], s[0:1], v15, s0, v[7:8]
	v_not_b32_e32 v17, 31
	v_cmp_lt_u32_e64 s[0:1], 31, v16
	v_cndmask_b32_e64 v7, 0, v17, s[0:1]
	v_add_u32_e32 v16, v7, v16
	v_mov_b32_e32 v7, v14
	s_mov_b32 s2, 0xa2f9836e
	v_mad_u64_u32 v[7:8], s[2:3], v15, s2, v[7:8]
	v_cmp_lt_u32_e64 s[2:3], 31, v16
	v_cndmask_b32_e64 v14, 0, v17, s[2:3]
	v_cndmask_b32_e32 v15, v13, v11, vcc
	v_cndmask_b32_e32 v7, v7, v12, vcc
	;; [unrolled: 1-line block ×3, first 2 shown]
	v_add_u32_e32 v14, v14, v16
	v_cndmask_b32_e64 v16, v7, v15, s[0:1]
	v_cndmask_b32_e64 v7, v8, v7, s[0:1]
	v_cndmask_b32_e32 v8, v12, v10, vcc
	v_cndmask_b32_e64 v12, v15, v8, s[0:1]
	v_cndmask_b32_e32 v9, v11, v9, vcc
	v_cndmask_b32_e64 v7, v7, v16, s[2:3]
	v_cndmask_b32_e64 v13, v16, v12, s[2:3]
	v_sub_u32_e32 v15, 32, v14
	v_cndmask_b32_e64 v8, v8, v9, s[0:1]
	v_alignbit_b32 v16, v7, v13, v15
	v_cmp_eq_u32_e64 s[4:5], 0, v14
	v_cndmask_b32_e64 v11, v12, v8, s[2:3]
	v_cndmask_b32_e64 v7, v16, v7, s[4:5]
	v_alignbit_b32 v12, v13, v11, v15
	v_cndmask_b32_e32 v6, v10, v6, vcc
	v_cndmask_b32_e64 v12, v12, v13, s[4:5]
	v_bfe_u32 v16, v7, 29, 1
	v_cndmask_b32_e64 v6, v9, v6, s[0:1]
	v_alignbit_b32 v13, v7, v12, 30
	v_sub_u32_e32 v17, 0, v16
	v_cndmask_b32_e64 v6, v8, v6, s[2:3]
	v_xor_b32_e32 v13, v13, v17
	v_alignbit_b32 v8, v11, v6, v15
	v_cndmask_b32_e64 v8, v8, v11, s[4:5]
	v_ffbh_u32_e32 v10, v13
	v_alignbit_b32 v9, v12, v8, 30
	v_min_u32_e32 v10, 32, v10
	v_alignbit_b32 v6, v8, v6, 30
	v_xor_b32_e32 v9, v9, v17
	v_sub_u32_e32 v11, 31, v10
	v_xor_b32_e32 v6, v6, v17
	v_alignbit_b32 v12, v13, v9, v11
	v_alignbit_b32 v6, v9, v6, v11
	;; [unrolled: 1-line block ×3, first 2 shown]
	v_ffbh_u32_e32 v9, v8
	v_min_u32_e32 v9, 32, v9
	v_lshrrev_b32_e32 v14, 29, v7
	v_not_b32_e32 v11, v9
	v_alignbit_b32 v6, v8, v6, v11
	v_lshlrev_b32_e32 v8, 31, v14
	v_or_b32_e32 v11, 0x33000000, v8
	v_add_lshl_u32 v9, v9, v10, 23
	v_lshrrev_b32_e32 v6, 9, v6
	v_sub_u32_e32 v9, v11, v9
	v_or_b32_e32 v8, 0.5, v8
	v_lshlrev_b32_e32 v10, 23, v10
	v_or_b32_e32 v6, v9, v6
	v_lshrrev_b32_e32 v9, 9, v12
	v_sub_u32_e32 v8, v8, v10
	v_or_b32_e32 v8, v9, v8
	s_mov_b32 s0, 0x3fc90fda
	v_mul_f32_e32 v9, 0x3fc90fda, v8
	v_fma_f32 v10, v8, s0, -v9
	v_fmac_f32_e32 v10, 0x33a22168, v8
	v_fmac_f32_e32 v10, 0x3fc90fda, v6
	v_lshrrev_b32_e32 v7, 30, v7
	v_add_f32_e32 v6, v9, v10
	v_add_u32_e32 v7, v16, v7
	s_andn2_saveexec_b64 s[0:1], s[14:15]
	s_cbranch_execz .LBB22_14
	s_branch .LBB22_13
.LBB22_12:
	s_andn2_saveexec_b64 s[0:1], s[14:15]
	s_cbranch_execz .LBB22_14
.LBB22_13:
	s_mov_b32 s2, 0x3f22f983
	v_mul_f32_e64 v6, |v3|, s2
	v_rndne_f32_e32 v8, v6
	s_mov_b32 s2, 0xbfc90fda
	v_cvt_i32_f32_e32 v7, v8
	v_fma_f32 v6, v8, s2, |v3|
	v_fmac_f32_e32 v6, 0xb3a22168, v8
	v_fmac_f32_e32 v6, 0xa7c234c4, v8
.LBB22_14:
	s_or_b64 exec, exec, s[0:1]
                                        ; implicit-def: $vgpr9
                                        ; implicit-def: $vgpr8
	s_and_saveexec_b64 s[0:1], s[12:13]
	s_xor_b64 s[12:13], exec, s[0:1]
	s_cbranch_execz .LBB22_16
; %bb.15:
	v_and_b32_e32 v8, 0x7fffff, v5
	v_or_b32_e32 v17, 0x800000, v8
	s_mov_b32 s0, 0xfe5163ab
	v_mad_u64_u32 v[8:9], s[0:1], v17, s0, 0
	v_mov_b32_e32 v10, 0
	s_mov_b32 s0, 0x3c439041
	v_mad_u64_u32 v[11:12], s[0:1], v17, s0, v[9:10]
	s_mov_b32 s0, 0xdb629599
	v_add_u32_e32 v2, 0xffffff88, v2
	v_mov_b32_e32 v9, v12
	v_mad_u64_u32 v[12:13], s[0:1], v17, s0, v[9:10]
	s_mov_b32 s0, 0xf534ddc0
	v_not_b32_e32 v16, 63
	v_mov_b32_e32 v9, v13
	v_mad_u64_u32 v[13:14], s[0:1], v17, s0, v[9:10]
	s_mov_b32 s0, 0xfc2757d1
	v_cmp_lt_u32_e32 vcc, 63, v2
	v_mov_b32_e32 v9, v14
	v_mad_u64_u32 v[14:15], s[0:1], v17, s0, v[9:10]
	v_cndmask_b32_e32 v9, 0, v16, vcc
	v_add_u32_e32 v2, v9, v2
	v_mov_b32_e32 v9, v15
	s_mov_b32 s0, 0x4e441529
	v_mad_u64_u32 v[15:16], s[0:1], v17, s0, v[9:10]
	v_not_b32_e32 v18, 31
	v_cmp_lt_u32_e64 s[0:1], 31, v2
	v_cndmask_b32_e64 v9, 0, v18, s[0:1]
	v_add_u32_e32 v2, v9, v2
	v_mov_b32_e32 v9, v16
	s_mov_b32 s2, 0xa2f9836e
	v_mad_u64_u32 v[9:10], s[2:3], v17, s2, v[9:10]
	v_cmp_lt_u32_e64 s[2:3], 31, v2
	v_cndmask_b32_e64 v16, 0, v18, s[2:3]
	v_add_u32_e32 v2, v16, v2
	v_cndmask_b32_e32 v16, v15, v13, vcc
	v_cndmask_b32_e32 v9, v9, v14, vcc
	;; [unrolled: 1-line block ×3, first 2 shown]
	v_cndmask_b32_e64 v17, v9, v16, s[0:1]
	v_cndmask_b32_e64 v9, v10, v9, s[0:1]
	v_cndmask_b32_e32 v10, v14, v12, vcc
	v_cndmask_b32_e64 v14, v16, v10, s[0:1]
	v_cndmask_b32_e64 v9, v9, v17, s[2:3]
	v_cndmask_b32_e64 v15, v17, v14, s[2:3]
	v_sub_u32_e32 v16, 32, v2
	v_alignbit_b32 v17, v9, v15, v16
	v_cmp_eq_u32_e64 s[4:5], 0, v2
	v_cndmask_b32_e64 v2, v17, v9, s[4:5]
	v_cndmask_b32_e32 v9, v13, v11, vcc
	v_cndmask_b32_e64 v10, v10, v9, s[0:1]
	v_cndmask_b32_e64 v11, v14, v10, s[2:3]
	v_alignbit_b32 v13, v15, v11, v16
	v_cndmask_b32_e32 v8, v12, v8, vcc
	v_cndmask_b32_e64 v13, v13, v15, s[4:5]
	v_bfe_u32 v17, v2, 29, 1
	v_cndmask_b32_e64 v8, v9, v8, s[0:1]
	v_alignbit_b32 v14, v2, v13, 30
	v_sub_u32_e32 v18, 0, v17
	v_cndmask_b32_e64 v8, v10, v8, s[2:3]
	v_xor_b32_e32 v14, v14, v18
	v_alignbit_b32 v9, v11, v8, v16
	v_cndmask_b32_e64 v9, v9, v11, s[4:5]
	v_ffbh_u32_e32 v11, v14
	v_alignbit_b32 v10, v13, v9, 30
	v_min_u32_e32 v11, 32, v11
	v_alignbit_b32 v8, v9, v8, 30
	v_xor_b32_e32 v10, v10, v18
	v_sub_u32_e32 v12, 31, v11
	v_xor_b32_e32 v8, v8, v18
	v_alignbit_b32 v13, v14, v10, v12
	v_alignbit_b32 v8, v10, v8, v12
	;; [unrolled: 1-line block ×3, first 2 shown]
	v_ffbh_u32_e32 v10, v9
	v_min_u32_e32 v10, 32, v10
	v_lshrrev_b32_e32 v15, 29, v2
	v_not_b32_e32 v12, v10
	v_alignbit_b32 v8, v9, v8, v12
	v_lshlrev_b32_e32 v9, 31, v15
	v_or_b32_e32 v12, 0x33000000, v9
	v_add_lshl_u32 v10, v10, v11, 23
	v_lshrrev_b32_e32 v8, 9, v8
	v_sub_u32_e32 v10, v12, v10
	v_or_b32_e32 v9, 0.5, v9
	v_lshlrev_b32_e32 v11, 23, v11
	v_or_b32_e32 v8, v10, v8
	v_lshrrev_b32_e32 v10, 9, v13
	v_sub_u32_e32 v9, v9, v11
	v_or_b32_e32 v9, v10, v9
	s_mov_b32 s0, 0x3fc90fda
	v_mul_f32_e32 v10, 0x3fc90fda, v9
	v_fma_f32 v11, v9, s0, -v10
	v_fmac_f32_e32 v11, 0x33a22168, v9
	v_fmac_f32_e32 v11, 0x3fc90fda, v8
	v_lshrrev_b32_e32 v2, 30, v2
	v_add_f32_e32 v8, v10, v11
	v_add_u32_e32 v9, v17, v2
	s_andn2_saveexec_b64 s[0:1], s[12:13]
	s_cbranch_execnz .LBB22_17
	s_branch .LBB22_18
.LBB22_16:
	s_andn2_saveexec_b64 s[0:1], s[12:13]
	s_cbranch_execz .LBB22_18
.LBB22_17:
	s_mov_b32 s2, 0x3f22f983
	v_mul_f32_e64 v2, |v3|, s2
	v_rndne_f32_e32 v2, v2
	s_mov_b32 s2, 0xbfc90fda
	v_cvt_i32_f32_e32 v9, v2
	v_fma_f32 v8, v2, s2, |v3|
	v_fmac_f32_e32 v8, 0xb3a22168, v2
	v_fmac_f32_e32 v8, 0xa7c234c4, v2
.LBB22_18:
	s_or_b64 exec, exec, s[0:1]
	v_ashrrev_i32_e32 v2, 31, v1
	s_lshr_b32 s0, s7, 31
	v_lshlrev_b64 v[1:2], 2, v[1:2]
	s_add_i32 s0, s7, s0
	s_ashr_i32 s0, s0, 1
	v_mov_b32_e32 v10, s9
	v_add_co_u32_e32 v1, vcc, s8, v1
	s_ashr_i32 s1, s0, 31
	v_addc_co_u32_e32 v2, vcc, v10, v2, vcc
	s_lshl_b64 s[2:3], s[0:1], 2
	v_mov_b32_e32 v11, s3
	v_add_co_u32_e32 v10, vcc, s2, v1
	v_addc_co_u32_e32 v11, vcc, v2, v11, vcc
	global_load_dword v12, v[1:2], off
	global_load_dword v13, v[10:11], off
	v_ashrrev_i32_e32 v1, 31, v0
	v_lshlrev_b64 v[0:1], 1, v[0:1]
	v_mul_f32_e32 v2, v6, v6
	v_mov_b32_e32 v11, 0x3c0881c4
	v_mov_b32_e32 v16, 0xbab64f3b
	;; [unrolled: 1-line block ×3, first 2 shown]
	v_add_co_u32_e32 v0, vcc, s10, v0
	v_mov_b32_e32 v10, 0x3c0881c4
	v_mov_b32_e32 v14, 0xbe2aaa9d
	;; [unrolled: 1-line block ×3, first 2 shown]
	v_addc_co_u32_e32 v1, vcc, v17, v1, vcc
	v_mov_b32_e32 v17, 0x3d2aabf7
	v_mul_f32_e32 v19, v8, v8
	v_fmac_f32_e32 v11, 0xb94c1982, v2
	v_fmac_f32_e32 v16, 0x37d75334, v2
	v_mov_b32_e32 v18, 0xbf000004
	v_fmac_f32_e32 v10, 0xb94c1982, v19
	v_fma_f32 v11, v2, v11, v14
	v_fmac_f32_e32 v15, 0x37d75334, v19
	v_fma_f32 v16, v2, v16, v17
	v_fmac_f32_e32 v14, v19, v10
	v_and_b32_e32 v10, 1, v7
	v_fmac_f32_e32 v17, v19, v15
	v_mul_f32_e32 v11, v2, v11
	v_fma_f32 v16, v2, v16, v18
	v_lshlrev_b32_e32 v15, 30, v9
	v_and_b32_e32 v9, 1, v9
	v_mul_f32_e32 v14, v19, v14
	v_fmac_f32_e32 v18, v19, v17
	v_fmac_f32_e32 v6, v6, v11
	v_fma_f32 v2, v2, v16, 1.0
	v_cmp_eq_u32_e32 vcc, 0, v10
	v_lshlrev_b32_e32 v7, 30, v7
	v_xor_b32_e32 v5, v5, v3
	v_and_b32_e32 v15, 0x80000000, v15
	v_fmac_f32_e32 v8, v8, v14
	v_fma_f32 v11, v19, v18, 1.0
	v_cndmask_b32_e64 v2, -v6, v2, vcc
	v_cmp_eq_u32_e32 vcc, 0, v9
	v_xor_b32_e32 v5, v5, v15
	v_and_b32_e32 v7, 0x80000000, v7
	s_lshl_b64 s[0:1], s[0:1], 1
	v_cndmask_b32_e32 v6, v11, v8, vcc
	v_mov_b32_e32 v8, s1
	v_xor_b32_e32 v2, v7, v2
	v_xor_b32_e32 v7, v5, v6
	v_add_co_u32_e32 v5, vcc, s0, v0
	s_movk_i32 s2, 0x1f8
	v_addc_co_u32_e32 v6, vcc, v1, v8, vcc
	v_mov_b32_e32 v15, 0x7fc00000
	v_cmp_class_f32_e64 vcc, v3, s2
	v_cndmask_b32_e32 v3, v15, v7, vcc
	v_cndmask_b32_e32 v2, v15, v2, vcc
	v_mul_f32_e64 v3, v3, -v4
	v_mul_f32_e32 v2, v4, v2
	s_waitcnt vmcnt(1)
	v_mul_f32_e32 v4, v12, v3
	s_waitcnt vmcnt(0)
	v_mul_f32_e32 v3, v13, v3
	v_fma_mixlo_f16 v4, v2, v13, v4
	v_fma_mixlo_f16 v2, v2, v12, -v3
	global_store_short v[0:1], v2, off
	global_store_short v[5:6], v4, off
.LBB22_19:
	s_endpgm
	.section	.rodata,"a",@progbits
	.p2align	6, 0x0
	.amdhsa_kernel _ZL9rope_neoxILb0ELb0Ef6__halfEvPKT1_PT2_iiiiiiiiiiPKifff14rope_corr_dimsfPKfPKli
		.amdhsa_group_segment_fixed_size 0
		.amdhsa_private_segment_fixed_size 0
		.amdhsa_kernarg_size 368
		.amdhsa_user_sgpr_count 6
		.amdhsa_user_sgpr_private_segment_buffer 1
		.amdhsa_user_sgpr_dispatch_ptr 0
		.amdhsa_user_sgpr_queue_ptr 0
		.amdhsa_user_sgpr_kernarg_segment_ptr 1
		.amdhsa_user_sgpr_dispatch_id 0
		.amdhsa_user_sgpr_flat_scratch_init 0
		.amdhsa_user_sgpr_private_segment_size 0
		.amdhsa_uses_dynamic_stack 0
		.amdhsa_system_sgpr_private_segment_wavefront_offset 0
		.amdhsa_system_sgpr_workgroup_id_x 1
		.amdhsa_system_sgpr_workgroup_id_y 1
		.amdhsa_system_sgpr_workgroup_id_z 0
		.amdhsa_system_sgpr_workgroup_info 0
		.amdhsa_system_vgpr_workitem_id 1
		.amdhsa_next_free_vgpr 20
		.amdhsa_next_free_sgpr 20
		.amdhsa_reserve_vcc 1
		.amdhsa_reserve_flat_scratch 0
		.amdhsa_float_round_mode_32 0
		.amdhsa_float_round_mode_16_64 0
		.amdhsa_float_denorm_mode_32 3
		.amdhsa_float_denorm_mode_16_64 3
		.amdhsa_dx10_clamp 1
		.amdhsa_ieee_mode 1
		.amdhsa_fp16_overflow 0
		.amdhsa_exception_fp_ieee_invalid_op 0
		.amdhsa_exception_fp_denorm_src 0
		.amdhsa_exception_fp_ieee_div_zero 0
		.amdhsa_exception_fp_ieee_overflow 0
		.amdhsa_exception_fp_ieee_underflow 0
		.amdhsa_exception_fp_ieee_inexact 0
		.amdhsa_exception_int_div_zero 0
	.end_amdhsa_kernel
	.section	.text._ZL9rope_neoxILb0ELb0Ef6__halfEvPKT1_PT2_iiiiiiiiiiPKifff14rope_corr_dimsfPKfPKli,"axG",@progbits,_ZL9rope_neoxILb0ELb0Ef6__halfEvPKT1_PT2_iiiiiiiiiiPKifff14rope_corr_dimsfPKfPKli,comdat
.Lfunc_end22:
	.size	_ZL9rope_neoxILb0ELb0Ef6__halfEvPKT1_PT2_iiiiiiiiiiPKifff14rope_corr_dimsfPKfPKli, .Lfunc_end22-_ZL9rope_neoxILb0ELb0Ef6__halfEvPKT1_PT2_iiiiiiiiiiPKifff14rope_corr_dimsfPKfPKli
                                        ; -- End function
	.set _ZL9rope_neoxILb0ELb0Ef6__halfEvPKT1_PT2_iiiiiiiiiiPKifff14rope_corr_dimsfPKfPKli.num_vgpr, 20
	.set _ZL9rope_neoxILb0ELb0Ef6__halfEvPKT1_PT2_iiiiiiiiiiPKifff14rope_corr_dimsfPKfPKli.num_agpr, 0
	.set _ZL9rope_neoxILb0ELb0Ef6__halfEvPKT1_PT2_iiiiiiiiiiPKifff14rope_corr_dimsfPKfPKli.numbered_sgpr, 20
	.set _ZL9rope_neoxILb0ELb0Ef6__halfEvPKT1_PT2_iiiiiiiiiiPKifff14rope_corr_dimsfPKfPKli.num_named_barrier, 0
	.set _ZL9rope_neoxILb0ELb0Ef6__halfEvPKT1_PT2_iiiiiiiiiiPKifff14rope_corr_dimsfPKfPKli.private_seg_size, 0
	.set _ZL9rope_neoxILb0ELb0Ef6__halfEvPKT1_PT2_iiiiiiiiiiPKifff14rope_corr_dimsfPKfPKli.uses_vcc, 1
	.set _ZL9rope_neoxILb0ELb0Ef6__halfEvPKT1_PT2_iiiiiiiiiiPKifff14rope_corr_dimsfPKfPKli.uses_flat_scratch, 0
	.set _ZL9rope_neoxILb0ELb0Ef6__halfEvPKT1_PT2_iiiiiiiiiiPKifff14rope_corr_dimsfPKfPKli.has_dyn_sized_stack, 0
	.set _ZL9rope_neoxILb0ELb0Ef6__halfEvPKT1_PT2_iiiiiiiiiiPKifff14rope_corr_dimsfPKfPKli.has_recursion, 0
	.set _ZL9rope_neoxILb0ELb0Ef6__halfEvPKT1_PT2_iiiiiiiiiiPKifff14rope_corr_dimsfPKfPKli.has_indirect_call, 0
	.section	.AMDGPU.csdata,"",@progbits
; Kernel info:
; codeLenInByte = 3804
; TotalNumSgprs: 24
; NumVgprs: 20
; ScratchSize: 0
; MemoryBound: 0
; FloatMode: 240
; IeeeMode: 1
; LDSByteSize: 0 bytes/workgroup (compile time only)
; SGPRBlocks: 2
; VGPRBlocks: 4
; NumSGPRsForWavesPerEU: 24
; NumVGPRsForWavesPerEU: 20
; Occupancy: 10
; WaveLimiterHint : 0
; COMPUTE_PGM_RSRC2:SCRATCH_EN: 0
; COMPUTE_PGM_RSRC2:USER_SGPR: 6
; COMPUTE_PGM_RSRC2:TRAP_HANDLER: 0
; COMPUTE_PGM_RSRC2:TGID_X_EN: 1
; COMPUTE_PGM_RSRC2:TGID_Y_EN: 1
; COMPUTE_PGM_RSRC2:TGID_Z_EN: 0
; COMPUTE_PGM_RSRC2:TIDIG_COMP_CNT: 1
	.section	.text._ZL9rope_neoxILb0ELb1Ef6__halfEvPKT1_PT2_iiiiiiiiiiPKifff14rope_corr_dimsfPKfPKli,"axG",@progbits,_ZL9rope_neoxILb0ELb1Ef6__halfEvPKT1_PT2_iiiiiiiiiiPKifff14rope_corr_dimsfPKfPKli,comdat
	.globl	_ZL9rope_neoxILb0ELb1Ef6__halfEvPKT1_PT2_iiiiiiiiiiPKifff14rope_corr_dimsfPKfPKli ; -- Begin function _ZL9rope_neoxILb0ELb1Ef6__halfEvPKT1_PT2_iiiiiiiiiiPKifff14rope_corr_dimsfPKfPKli
	.p2align	8
	.type	_ZL9rope_neoxILb0ELb1Ef6__halfEvPKT1_PT2_iiiiiiiiiiPKifff14rope_corr_dimsfPKfPKli,@function
_ZL9rope_neoxILb0ELb1Ef6__halfEvPKT1_PT2_iiiiiiiiiiPKifff14rope_corr_dimsfPKfPKli: ; @_ZL9rope_neoxILb0ELb1Ef6__halfEvPKT1_PT2_iiiiiiiiiiPKifff14rope_corr_dimsfPKfPKli
; %bb.0:
	s_load_dword s2, s[4:5], 0x7c
	s_load_dwordx8 s[8:15], s[4:5], 0x10
	s_add_u32 s0, s4, 0x70
	s_addc_u32 s1, s5, 0
	s_waitcnt lgkmcnt(0)
	s_lshr_b32 s2, s2, 16
	s_mul_i32 s7, s7, s2
	v_add_lshl_u32 v5, s7, v1, 1
	v_cmp_gt_i32_e32 vcc, s8, v5
	s_and_saveexec_b64 s[2:3], vcc
	s_cbranch_execz .LBB23_19
; %bb.1:
	s_mul_i32 s2, s10, s9
	s_abs_i32 s3, s2
	v_cvt_f32_u32_e32 v1, s3
	s_load_dword s0, s[0:1], 0xc
	s_sub_i32 s1, 0, s3
	v_cvt_f32_u32_e32 v2, s9
	v_rcp_iflag_f32_e32 v1, v1
	s_waitcnt lgkmcnt(0)
	s_and_b32 s0, s0, 0xffff
	s_mul_i32 s6, s6, s0
	v_mul_f32_e32 v1, 0x4f7ffffe, v1
	v_cvt_u32_f32_e32 v1, v1
	v_add_u32_e32 v0, s6, v0
	v_sub_u32_e32 v4, 0, v0
	v_max_i32_e32 v4, v0, v4
	v_mul_lo_u32 v3, s1, v1
	v_rcp_iflag_f32_e32 v2, v2
	s_sub_i32 s0, 0, s9
	v_xor_b32_e32 v6, s2, v0
	v_mul_hi_u32 v3, v1, v3
	v_mul_f32_e32 v2, 0x4f7ffffe, v2
	v_cvt_u32_f32_e32 v2, v2
	v_ashrrev_i32_e32 v6, 31, v6
	v_add_u32_e32 v1, v1, v3
	v_mul_hi_u32 v1, v4, v1
	v_mul_lo_u32 v3, s0, v2
	s_load_dword s6, s[4:5], 0x68
	v_mul_lo_u32 v7, v1, s3
	v_add_u32_e32 v8, 1, v1
	v_mul_hi_u32 v3, v2, v3
	s_waitcnt lgkmcnt(0)
	s_cmp_eq_u32 s6, 0
	v_sub_u32_e32 v4, v4, v7
	v_cmp_le_u32_e32 vcc, s3, v4
	v_subrev_u32_e32 v7, s3, v4
	v_cndmask_b32_e32 v1, v1, v8, vcc
	v_cndmask_b32_e32 v4, v4, v7, vcc
	v_add_u32_e32 v7, 1, v1
	v_cmp_le_u32_e32 vcc, s3, v4
	v_cndmask_b32_e32 v1, v1, v7, vcc
	v_xor_b32_e32 v1, v1, v6
	v_sub_u32_e32 v6, v1, v6
	v_mul_lo_u32 v1, s2, v6
	v_add_u32_e32 v2, v2, v3
	s_load_dwordx2 s[16:17], s[4:5], 0x30
	s_load_dwordx4 s[0:3], s[4:5], 0x58
	v_sub_u32_e32 v7, v0, v1
	v_mul_hi_u32 v0, v7, v2
	v_mul_lo_u32 v1, v0, s9
	v_add_u32_e32 v2, 1, v0
	v_sub_u32_e32 v1, v7, v1
	v_cmp_le_u32_e32 vcc, s9, v1
	v_cndmask_b32_e32 v0, v0, v2, vcc
	v_subrev_u32_e32 v2, s9, v1
	v_cndmask_b32_e32 v1, v1, v2, vcc
	v_add_u32_e32 v2, 1, v0
	v_cmp_le_u32_e32 vcc, s9, v1
	v_cndmask_b32_e32 v3, v0, v2, vcc
	s_cbranch_scc1 .LBB23_3
; %bb.2:
	v_mov_b32_e32 v4, 0
	v_lshlrev_b64 v[0:1], 3, v[3:4]
	s_waitcnt lgkmcnt(0)
	v_mov_b32_e32 v2, s3
	v_add_co_u32_e32 v0, vcc, s2, v0
	v_addc_co_u32_e32 v1, vcc, v2, v1, vcc
	global_load_dword v0, v[0:1], off
	s_waitcnt vmcnt(0)
	v_mul_lo_u32 v0, s6, v0
	s_branch .LBB23_4
.LBB23_3:
	s_waitcnt lgkmcnt(0)
	v_mul_lo_u32 v0, v6, s16
	v_mad_u64_u32 v[0:1], s[2:3], v3, s15, v[0:1]
.LBB23_4:
	v_mul_lo_u32 v1, v3, s9
	v_ashrrev_i32_e32 v2, 1, v5
	v_mul_lo_u32 v4, v3, s12
	v_cmp_le_i32_e32 vcc, s17, v5
	v_sub_u32_e32 v1, v7, v1
	v_mad_u64_u32 v[6:7], s[2:3], v6, s13, v[2:3]
	v_mul_lo_u32 v8, v1, s11
	v_mul_lo_u32 v7, v1, s14
	s_load_dwordx4 s[8:11], s[4:5], 0x0
	v_add3_u32 v1, v6, v4, v8
	v_add3_u32 v0, v7, v2, v0
	s_and_saveexec_b64 s[2:3], vcc
	s_xor_b64 s[2:3], exec, s[2:3]
	s_cbranch_execz .LBB23_6
; %bb.5:
	v_add_u32_e32 v3, v1, v2
	v_ashrrev_i32_e32 v4, 31, v3
	v_lshlrev_b64 v[3:4], 2, v[3:4]
	s_waitcnt lgkmcnt(0)
	v_mov_b32_e32 v1, s9
	v_add_co_u32_e32 v3, vcc, s8, v3
	v_addc_co_u32_e32 v4, vcc, v1, v4, vcc
	global_load_dword v5, v[3:4], off
	v_add_u32_e32 v0, v0, v2
	v_ashrrev_i32_e32 v1, 31, v0
	v_lshlrev_b64 v[0:1], 1, v[0:1]
	v_mov_b32_e32 v2, s11
	v_add_co_u32_e32 v0, vcc, s10, v0
	v_addc_co_u32_e32 v1, vcc, v2, v1, vcc
	s_waitcnt vmcnt(0)
	v_cvt_f16_f32_e32 v5, v5
	global_store_short v[0:1], v5, off
	global_load_dword v2, v[3:4], off offset:4
                                        ; implicit-def: $vgpr3
                                        ; implicit-def: $vgpr5
	s_waitcnt vmcnt(0)
	v_cvt_f16_f32_e32 v2, v2
	global_store_short v[0:1], v2, off offset:2
                                        ; implicit-def: $vgpr1
                                        ; implicit-def: $vgpr0
                                        ; implicit-def: $vgpr2
.LBB23_6:
	s_andn2_saveexec_b64 s[2:3], s[2:3]
	s_cbranch_execz .LBB23_19
; %bb.7:
	s_load_dwordx2 s[2:3], s[4:5], 0x38
	s_load_dwordx2 s[12:13], s[4:5], 0x50
	v_mov_b32_e32 v4, 0
	v_lshlrev_b64 v[3:4], 2, v[3:4]
	v_mov_b32_e32 v8, 0x3e91f4c4
	s_waitcnt lgkmcnt(0)
	v_mov_b32_e32 v6, s3
	v_add_co_u32_e32 v3, vcc, s2, v3
	v_addc_co_u32_e32 v4, vcc, v6, v4, vcc
	global_load_dword v3, v[3:4], off
	v_cvt_f32_i32_e32 v4, v5
	v_cmp_neq_f32_e64 vcc, s13, 1.0
	s_mov_b32 s2, 0x3f2aaaab
	v_mov_b32_e32 v9, 0x3ecccdef
	v_mul_f32_e32 v4, 0.5, v4
	v_cndmask_b32_e32 v5, 1.0, v4, vcc
	v_mov_b32_e32 v4, s13
	v_cmp_neq_f32_e32 vcc, 0, v5
	v_cndmask_b32_e32 v4, 1.0, v4, vcc
	v_frexp_mant_f32_e64 v10, |v4|
	v_cmp_gt_f32_e32 vcc, s2, v10
	v_cvt_f64_f32_e64 v[6:7], |v4|
	v_cndmask_b32_e64 v11, 1.0, 2.0, vcc
	v_mul_f32_e32 v10, v10, v11
	v_add_f32_e32 v12, 1.0, v10
	v_rcp_f32_e32 v13, v12
	v_frexp_exp_i32_f64_e32 v6, v[6:7]
	v_add_f32_e32 v11, -1.0, v10
	v_add_f32_e32 v14, -1.0, v12
	v_sub_f32_e32 v7, v10, v14
	v_mul_f32_e32 v10, v11, v13
	v_mul_f32_e32 v14, v12, v10
	v_fma_f32 v12, v10, v12, -v14
	v_fmac_f32_e32 v12, v10, v7
	v_add_f32_e32 v7, v14, v12
	v_subbrev_co_u32_e32 v6, vcc, 0, v6, vcc
	v_sub_f32_e32 v15, v11, v7
	v_sub_f32_e32 v14, v7, v14
	v_cvt_f32_i32_e32 v16, v6
	v_sub_f32_e32 v6, v11, v15
	v_sub_f32_e32 v11, v14, v12
	;; [unrolled: 1-line block ×3, first 2 shown]
	v_add_f32_e32 v6, v11, v6
	v_add_f32_e32 v6, v15, v6
	v_mul_f32_e32 v6, v13, v6
	v_add_f32_e32 v12, v10, v6
	v_sub_f32_e32 v10, v12, v10
	v_mul_f32_e32 v13, v12, v12
	v_sub_f32_e32 v10, v6, v10
	v_fma_f32 v6, v12, v12, -v13
	v_add_f32_e32 v14, v10, v10
	v_fmac_f32_e32 v6, v12, v14
	v_add_f32_e32 v14, v13, v6
	v_fmac_f32_e32 v8, 0x3e76c4e1, v14
	v_mul_f32_e32 v15, v12, v14
	v_sub_f32_e32 v13, v14, v13
	v_fmac_f32_e32 v9, v14, v8
	v_fma_f32 v8, v14, v12, -v15
	v_sub_f32_e32 v6, v6, v13
	v_fmac_f32_e32 v8, v14, v10
	v_mul_f32_e32 v13, v14, v9
	v_fmac_f32_e32 v8, v6, v12
	v_fma_f32 v14, v14, v9, -v13
	v_add_f32_e32 v17, v15, v8
	v_fmac_f32_e32 v14, v6, v9
	v_sub_f32_e32 v6, v17, v15
	v_add_f32_e32 v9, v13, v14
	v_sub_f32_e32 v6, v8, v6
	v_add_f32_e32 v8, 0x3f2aaaaa, v9
	v_sub_f32_e32 v13, v9, v13
	v_sub_f32_e32 v13, v14, v13
	v_add_f32_e32 v14, 0xbf2aaaaa, v8
	v_add_f32_e32 v13, 0x31739010, v13
	v_sub_f32_e32 v9, v9, v14
	v_add_f32_e32 v9, v13, v9
	v_add_f32_e32 v13, v8, v9
	s_mov_b32 s3, 0x3f317218
	v_mul_f32_e32 v7, 0x3f317218, v16
	v_sub_f32_e32 v8, v8, v13
	v_mul_f32_e32 v14, v17, v13
	v_fma_f32 v11, v16, s3, -v7
	v_add_f32_e32 v8, v9, v8
	v_fma_f32 v9, v17, v13, -v14
	v_fmac_f32_e32 v9, v17, v8
	v_fmac_f32_e32 v11, 0xb102e308, v16
	;; [unrolled: 1-line block ×3, first 2 shown]
	v_ldexp_f32 v8, v12, 1
	s_movk_i32 s14, 0x204
	s_waitcnt vmcnt(0)
	v_cvt_f32_i32_e32 v6, v3
	v_ldexp_f32 v3, v10, 1
	v_add_f32_e32 v10, v7, v11
	v_sub_f32_e32 v7, v10, v7
	v_sub_f32_e32 v7, v11, v7
	v_add_f32_e32 v11, v14, v9
	v_sub_f32_e32 v12, v11, v14
	v_sub_f32_e32 v9, v9, v12
	;; [unrolled: 3-line block ×3, first 2 shown]
	v_add_f32_e32 v3, v3, v9
	v_add_f32_e32 v3, v3, v8
	;; [unrolled: 1-line block ×3, first 2 shown]
	v_sub_f32_e32 v9, v8, v12
	v_sub_f32_e32 v3, v3, v9
	v_add_f32_e32 v9, v10, v8
	v_sub_f32_e32 v11, v9, v10
	v_sub_f32_e32 v12, v9, v11
	;; [unrolled: 1-line block ×4, first 2 shown]
	v_add_f32_e32 v11, v7, v3
	v_add_f32_e32 v10, v8, v10
	v_sub_f32_e32 v8, v11, v7
	v_sub_f32_e32 v12, v11, v8
	;; [unrolled: 1-line block ×4, first 2 shown]
	v_add_f32_e32 v12, v3, v7
	v_ashrrev_i32_e32 v3, 31, v2
	v_lshlrev_b64 v[7:8], 2, v[2:3]
	v_mov_b32_e32 v3, s1
	v_add_co_u32_e32 v7, vcc, s0, v7
	v_addc_co_u32_e32 v8, vcc, v3, v8, vcc
	global_load_dword v3, v[7:8], off
	v_add_f32_e32 v7, v11, v10
	v_add_f32_e32 v8, v9, v7
	v_sub_f32_e32 v9, v8, v9
	v_sub_f32_e32 v7, v7, v9
	v_add_f32_e32 v7, v12, v7
	v_add_f32_e32 v9, v8, v7
	v_sub_f32_e32 v8, v9, v8
	v_sub_f32_e32 v7, v7, v8
	v_mul_f32_e32 v8, v5, v9
	v_fma_f32 v9, v5, v9, -v8
	v_fmac_f32_e32 v9, v5, v7
	v_add_f32_e32 v7, v8, v9
	v_cmp_class_f32_e64 vcc, v8, s14
	v_sub_f32_e32 v10, v7, v8
	v_cndmask_b32_e32 v7, v7, v8, vcc
	s_mov_b32 s0, 0x42b17218
	v_mov_b32_e32 v8, 0x37000000
	v_cmp_eq_f32_e32 vcc, s0, v7
	v_cndmask_b32_e32 v8, 0, v8, vcc
	v_sub_f32_e32 v9, v9, v10
	v_sub_f32_e32 v10, v7, v8
	s_mov_b32 s1, 0x3fb8aa3b
	v_mul_f32_e32 v11, 0x3fb8aa3b, v10
	v_fma_f32 v12, v10, s1, -v11
	v_rndne_f32_e32 v13, v11
	v_fmac_f32_e32 v12, 0x32a5705f, v10
	v_sub_f32_e32 v11, v11, v13
	v_add_f32_e32 v11, v11, v12
	v_exp_f32_e32 v11, v11
	v_cvt_i32_f32_e32 v12, v13
	s_mov_b32 s13, 0x7f800000
	v_cmp_neq_f32_e64 vcc, |v7|, s13
	v_cndmask_b32_e32 v7, 0, v9, vcc
	s_mov_b32 s1, 0xc2ce8ed0
	v_add_f32_e32 v7, v8, v7
	v_ldexp_f32 v8, v11, v12
	v_cmp_ngt_f32_e32 vcc, s1, v10
	v_cndmask_b32_e32 v8, 0, v8, vcc
	v_mov_b32_e32 v9, 0x7f800000
	v_cmp_nlt_f32_e32 vcc, s0, v10
	v_cndmask_b32_e32 v8, v9, v8, vcc
	v_fma_f32 v7, v8, v7, v8
	v_cmp_class_f32_e64 vcc, v8, s14
	v_cndmask_b32_e32 v7, v7, v8, vcc
	v_trunc_f32_e32 v8, v5
	v_cmp_eq_f32_e32 vcc, v8, v5
	v_mul_f32_e32 v8, 0.5, v5
	v_trunc_f32_e32 v11, v8
	v_cmp_neq_f32_e64 s[0:1], v11, v8
	s_and_b64 s[0:1], vcc, s[0:1]
	v_cndmask_b32_e64 v8, 1.0, v4, s[0:1]
	s_brev_b32 s15, -2
	v_mov_b32_e32 v10, 0x7fc00000
	v_bfi_b32 v7, s15, v7, v8
	v_cmp_neq_f32_e64 s[2:3], v5, |v5|
	v_cmp_lt_f32_e64 s[6:7], |v4|, 1.0
	v_cndmask_b32_e32 v8, v10, v7, vcc
	v_cmp_gt_f32_e32 vcc, 0, v4
	s_xor_b64 s[2:3], s[2:3], s[6:7]
	v_cndmask_b32_e32 v7, v7, v8, vcc
	v_cndmask_b32_e64 v8, v9, 0, s[2:3]
	v_cmp_neq_f32_e64 vcc, |v4|, 1.0
	v_cndmask_b32_e32 v8, 1.0, v8, vcc
	v_cmp_class_f32_e64 vcc, v5, s14
	v_cndmask_b32_e32 v7, v7, v8, vcc
	v_cmp_eq_f32_e32 vcc, 0, v4
	v_cmp_gt_f32_e64 s[2:3], 0, v5
	s_xor_b64 s[2:3], s[2:3], vcc
	v_cmp_class_f32_e64 s[6:7], v4, s14
	v_cndmask_b32_e64 v5, v9, 0, s[2:3]
	v_cndmask_b32_e64 v8, 0, v4, s[0:1]
	v_bfi_b32 v5, s15, v5, v8
	s_or_b64 vcc, vcc, s[6:7]
	v_cndmask_b32_e32 v5, v7, v5, vcc
	v_cmp_o_f32_e32 vcc, v4, v4
	v_cndmask_b32_e32 v4, v10, v5, vcc
	v_mul_f32_e32 v4, v4, v6
	s_load_dwordx4 s[4:7], s[4:5], 0x40
	s_waitcnt vmcnt(0)
	v_div_scale_f32 v5, s[0:1], v3, v3, v4
	v_div_scale_f32 v6, vcc, v4, v3, v4
	s_waitcnt lgkmcnt(0)
	v_cmp_eq_f32_e64 s[0:1], s5, 0
	v_rcp_f32_e32 v7, v5
	v_fma_f32 v8, -v5, v7, 1.0
	v_fmac_f32_e32 v7, v8, v7
	v_mul_f32_e32 v8, v6, v7
	v_fma_f32 v9, -v5, v8, v6
	v_fmac_f32_e32 v8, v9, v7
	v_fma_f32 v5, -v5, v8, v6
	v_div_fmas_f32 v5, v5, v7, v8
	s_and_b64 vcc, exec, s[0:1]
	v_div_fixup_f32 v5, v5, v3, v4
	v_mul_f32_e32 v3, s4, v5
	s_cbranch_vccnz .LBB23_9
; %bb.8:
	v_cvt_f32_i32_e32 v2, v2
	v_div_scale_f32 v6, s[0:1], s4, s4, 1.0
	v_mov_b32_e32 v4, s7
	v_sub_f32_e32 v4, s12, v4
	v_subrev_f32_e32 v2, s7, v2
	v_max_f32_e32 v4, 0x3a83126f, v4
	v_div_scale_f32 v7, s[0:1], v4, v4, v2
	v_div_scale_f32 v8, s[0:1], 1.0, s4, 1.0
	v_div_scale_f32 v9, vcc, v2, v4, v2
	s_mov_b32 s2, 0x3f317217
	v_rcp_f32_e32 v10, v6
	v_fma_f32 v11, -v6, v10, 1.0
	v_fmac_f32_e32 v10, v11, v10
	v_rcp_f32_e32 v12, v7
	v_mul_f32_e32 v11, v8, v10
	v_fma_f32 v13, -v6, v11, v8
	v_fmac_f32_e32 v11, v13, v10
	v_fma_f32 v13, -v7, v12, 1.0
	v_fmac_f32_e32 v12, v13, v12
	v_fma_f32 v6, -v6, v11, v8
	v_mul_f32_e32 v8, v9, v12
	v_fma_f32 v13, -v7, v8, v9
	v_fmac_f32_e32 v8, v13, v12
	v_fma_f32 v7, -v7, v8, v9
	v_div_fmas_f32 v7, v7, v12, v8
	s_mov_b64 vcc, s[0:1]
	v_div_fmas_f32 v6, v6, v10, v11
	s_mov_b32 s0, 0x800000
	v_mov_b32_e32 v8, 0x41b17218
	v_div_fixup_f32 v2, v7, v4, v2 clamp
	v_sub_f32_e32 v2, 1.0, v2
	v_div_fixup_f32 v4, v6, s4, 1.0
	v_cmp_gt_f32_e32 vcc, s0, v4
	s_and_b64 s[0:1], vcc, exec
	s_cselect_b32 s0, 32, 0
	v_ldexp_f32 v4, v4, s0
	v_log_f32_e32 v4, v4
	v_mul_f32_e32 v6, s5, v2
	v_fma_f32 v2, -s5, v2, 1.0
	v_mul_f32_e32 v3, v2, v3
	v_mul_f32_e32 v2, 0x3f317217, v4
	v_fma_f32 v2, v4, s2, -v2
	v_fmac_f32_e32 v2, 0x3377d1cf, v4
	v_cndmask_b32_e32 v7, 0, v8, vcc
	v_fmac_f32_e32 v2, 0x3f317217, v4
	v_cmp_lt_f32_e64 vcc, |v4|, s13
	v_cndmask_b32_e32 v2, v4, v2, vcc
	v_sub_f32_e32 v2, v2, v7
	s_mov_b32 s0, 0x3dcccccd
	v_fma_f32 v2, v2, s0, 1.0
	v_fmac_f32_e32 v3, v6, v5
	v_mul_f32_e32 v4, s6, v2
	s_branch .LBB23_10
.LBB23_9:
	v_mov_b32_e32 v4, s6
.LBB23_10:
	v_and_b32_e32 v5, 0x7fffffff, v3
	s_brev_b32 s0, 18
	v_cmp_nlt_f32_e64 s[6:7], |v3|, s0
	v_lshrrev_b32_e32 v2, 23, v5
                                        ; implicit-def: $vgpr7
                                        ; implicit-def: $vgpr6
	s_and_saveexec_b64 s[0:1], s[6:7]
	s_xor_b64 s[12:13], exec, s[0:1]
	s_cbranch_execz .LBB23_12
; %bb.11:
	v_and_b32_e32 v6, 0x7fffff, v5
	v_or_b32_e32 v15, 0x800000, v6
	s_mov_b32 s0, 0xfe5163ab
	v_mad_u64_u32 v[6:7], s[0:1], v15, s0, 0
	v_mov_b32_e32 v8, 0
	s_mov_b32 s0, 0x3c439041
	v_mad_u64_u32 v[9:10], s[0:1], v15, s0, v[7:8]
	s_mov_b32 s0, 0xdb629599
	v_add_u32_e32 v14, 0xffffff88, v2
	v_mov_b32_e32 v7, v10
	v_mad_u64_u32 v[10:11], s[0:1], v15, s0, v[7:8]
	s_mov_b32 s0, 0xf534ddc0
	v_not_b32_e32 v16, 63
	v_mov_b32_e32 v7, v11
	v_mad_u64_u32 v[11:12], s[0:1], v15, s0, v[7:8]
	s_mov_b32 s0, 0xfc2757d1
	v_cmp_lt_u32_e32 vcc, 63, v14
	v_mov_b32_e32 v7, v12
	v_mad_u64_u32 v[12:13], s[0:1], v15, s0, v[7:8]
	v_cndmask_b32_e32 v7, 0, v16, vcc
	v_add_u32_e32 v16, v7, v14
	v_mov_b32_e32 v7, v13
	s_mov_b32 s0, 0x4e441529
	v_mad_u64_u32 v[13:14], s[0:1], v15, s0, v[7:8]
	v_not_b32_e32 v17, 31
	v_cmp_lt_u32_e64 s[0:1], 31, v16
	v_cndmask_b32_e64 v7, 0, v17, s[0:1]
	v_add_u32_e32 v16, v7, v16
	v_mov_b32_e32 v7, v14
	s_mov_b32 s2, 0xa2f9836e
	v_mad_u64_u32 v[7:8], s[2:3], v15, s2, v[7:8]
	v_cmp_lt_u32_e64 s[2:3], 31, v16
	v_cndmask_b32_e64 v14, 0, v17, s[2:3]
	v_cndmask_b32_e32 v15, v13, v11, vcc
	v_cndmask_b32_e32 v7, v7, v12, vcc
	;; [unrolled: 1-line block ×3, first 2 shown]
	v_add_u32_e32 v14, v14, v16
	v_cndmask_b32_e64 v16, v7, v15, s[0:1]
	v_cndmask_b32_e64 v7, v8, v7, s[0:1]
	v_cndmask_b32_e32 v8, v12, v10, vcc
	v_cndmask_b32_e64 v12, v15, v8, s[0:1]
	v_cndmask_b32_e32 v9, v11, v9, vcc
	v_cndmask_b32_e64 v7, v7, v16, s[2:3]
	v_cndmask_b32_e64 v13, v16, v12, s[2:3]
	v_sub_u32_e32 v15, 32, v14
	v_cndmask_b32_e64 v8, v8, v9, s[0:1]
	v_alignbit_b32 v16, v7, v13, v15
	v_cmp_eq_u32_e64 s[4:5], 0, v14
	v_cndmask_b32_e64 v11, v12, v8, s[2:3]
	v_cndmask_b32_e64 v7, v16, v7, s[4:5]
	v_alignbit_b32 v12, v13, v11, v15
	v_cndmask_b32_e32 v6, v10, v6, vcc
	v_cndmask_b32_e64 v12, v12, v13, s[4:5]
	v_bfe_u32 v16, v7, 29, 1
	v_cndmask_b32_e64 v6, v9, v6, s[0:1]
	v_alignbit_b32 v13, v7, v12, 30
	v_sub_u32_e32 v17, 0, v16
	v_cndmask_b32_e64 v6, v8, v6, s[2:3]
	v_xor_b32_e32 v13, v13, v17
	v_alignbit_b32 v8, v11, v6, v15
	v_cndmask_b32_e64 v8, v8, v11, s[4:5]
	v_ffbh_u32_e32 v10, v13
	v_alignbit_b32 v9, v12, v8, 30
	v_min_u32_e32 v10, 32, v10
	v_alignbit_b32 v6, v8, v6, 30
	v_xor_b32_e32 v9, v9, v17
	v_sub_u32_e32 v11, 31, v10
	v_xor_b32_e32 v6, v6, v17
	v_alignbit_b32 v12, v13, v9, v11
	v_alignbit_b32 v6, v9, v6, v11
	;; [unrolled: 1-line block ×3, first 2 shown]
	v_ffbh_u32_e32 v9, v8
	v_min_u32_e32 v9, 32, v9
	v_lshrrev_b32_e32 v14, 29, v7
	v_not_b32_e32 v11, v9
	v_alignbit_b32 v6, v8, v6, v11
	v_lshlrev_b32_e32 v8, 31, v14
	v_or_b32_e32 v11, 0x33000000, v8
	v_add_lshl_u32 v9, v9, v10, 23
	v_lshrrev_b32_e32 v6, 9, v6
	v_sub_u32_e32 v9, v11, v9
	v_or_b32_e32 v8, 0.5, v8
	v_lshlrev_b32_e32 v10, 23, v10
	v_or_b32_e32 v6, v9, v6
	v_lshrrev_b32_e32 v9, 9, v12
	v_sub_u32_e32 v8, v8, v10
	v_or_b32_e32 v8, v9, v8
	s_mov_b32 s0, 0x3fc90fda
	v_mul_f32_e32 v9, 0x3fc90fda, v8
	v_fma_f32 v10, v8, s0, -v9
	v_fmac_f32_e32 v10, 0x33a22168, v8
	v_fmac_f32_e32 v10, 0x3fc90fda, v6
	v_lshrrev_b32_e32 v7, 30, v7
	v_add_f32_e32 v6, v9, v10
	v_add_u32_e32 v7, v16, v7
	s_andn2_saveexec_b64 s[0:1], s[12:13]
	s_cbranch_execz .LBB23_14
	s_branch .LBB23_13
.LBB23_12:
	s_andn2_saveexec_b64 s[0:1], s[12:13]
	s_cbranch_execz .LBB23_14
.LBB23_13:
	s_mov_b32 s2, 0x3f22f983
	v_mul_f32_e64 v6, |v3|, s2
	v_rndne_f32_e32 v8, v6
	s_mov_b32 s2, 0xbfc90fda
	v_cvt_i32_f32_e32 v7, v8
	v_fma_f32 v6, v8, s2, |v3|
	v_fmac_f32_e32 v6, 0xb3a22168, v8
	v_fmac_f32_e32 v6, 0xa7c234c4, v8
.LBB23_14:
	s_or_b64 exec, exec, s[0:1]
                                        ; implicit-def: $vgpr9
                                        ; implicit-def: $vgpr8
	s_and_saveexec_b64 s[0:1], s[6:7]
	s_xor_b64 s[6:7], exec, s[0:1]
	s_cbranch_execz .LBB23_16
; %bb.15:
	v_and_b32_e32 v8, 0x7fffff, v5
	v_or_b32_e32 v17, 0x800000, v8
	s_mov_b32 s0, 0xfe5163ab
	v_mad_u64_u32 v[8:9], s[0:1], v17, s0, 0
	v_mov_b32_e32 v10, 0
	s_mov_b32 s0, 0x3c439041
	v_mad_u64_u32 v[11:12], s[0:1], v17, s0, v[9:10]
	s_mov_b32 s0, 0xdb629599
	v_add_u32_e32 v2, 0xffffff88, v2
	v_mov_b32_e32 v9, v12
	v_mad_u64_u32 v[12:13], s[0:1], v17, s0, v[9:10]
	s_mov_b32 s0, 0xf534ddc0
	v_not_b32_e32 v16, 63
	v_mov_b32_e32 v9, v13
	v_mad_u64_u32 v[13:14], s[0:1], v17, s0, v[9:10]
	s_mov_b32 s0, 0xfc2757d1
	v_cmp_lt_u32_e32 vcc, 63, v2
	v_mov_b32_e32 v9, v14
	v_mad_u64_u32 v[14:15], s[0:1], v17, s0, v[9:10]
	v_cndmask_b32_e32 v9, 0, v16, vcc
	v_add_u32_e32 v2, v9, v2
	v_mov_b32_e32 v9, v15
	s_mov_b32 s0, 0x4e441529
	v_mad_u64_u32 v[15:16], s[0:1], v17, s0, v[9:10]
	v_not_b32_e32 v18, 31
	v_cmp_lt_u32_e64 s[0:1], 31, v2
	v_cndmask_b32_e64 v9, 0, v18, s[0:1]
	v_add_u32_e32 v2, v9, v2
	v_mov_b32_e32 v9, v16
	s_mov_b32 s2, 0xa2f9836e
	v_mad_u64_u32 v[9:10], s[2:3], v17, s2, v[9:10]
	v_cmp_lt_u32_e64 s[2:3], 31, v2
	v_cndmask_b32_e64 v16, 0, v18, s[2:3]
	v_add_u32_e32 v2, v16, v2
	v_cndmask_b32_e32 v16, v15, v13, vcc
	v_cndmask_b32_e32 v9, v9, v14, vcc
	;; [unrolled: 1-line block ×3, first 2 shown]
	v_cndmask_b32_e64 v17, v9, v16, s[0:1]
	v_cndmask_b32_e64 v9, v10, v9, s[0:1]
	v_cndmask_b32_e32 v10, v14, v12, vcc
	v_cndmask_b32_e64 v14, v16, v10, s[0:1]
	v_cndmask_b32_e64 v9, v9, v17, s[2:3]
	;; [unrolled: 1-line block ×3, first 2 shown]
	v_sub_u32_e32 v16, 32, v2
	v_alignbit_b32 v17, v9, v15, v16
	v_cmp_eq_u32_e64 s[4:5], 0, v2
	v_cndmask_b32_e64 v2, v17, v9, s[4:5]
	v_cndmask_b32_e32 v9, v13, v11, vcc
	v_cndmask_b32_e64 v10, v10, v9, s[0:1]
	v_cndmask_b32_e64 v11, v14, v10, s[2:3]
	v_alignbit_b32 v13, v15, v11, v16
	v_cndmask_b32_e32 v8, v12, v8, vcc
	v_cndmask_b32_e64 v13, v13, v15, s[4:5]
	v_bfe_u32 v17, v2, 29, 1
	v_cndmask_b32_e64 v8, v9, v8, s[0:1]
	v_alignbit_b32 v14, v2, v13, 30
	v_sub_u32_e32 v18, 0, v17
	v_cndmask_b32_e64 v8, v10, v8, s[2:3]
	v_xor_b32_e32 v14, v14, v18
	v_alignbit_b32 v9, v11, v8, v16
	v_cndmask_b32_e64 v9, v9, v11, s[4:5]
	v_ffbh_u32_e32 v11, v14
	v_alignbit_b32 v10, v13, v9, 30
	v_min_u32_e32 v11, 32, v11
	v_alignbit_b32 v8, v9, v8, 30
	v_xor_b32_e32 v10, v10, v18
	v_sub_u32_e32 v12, 31, v11
	v_xor_b32_e32 v8, v8, v18
	v_alignbit_b32 v13, v14, v10, v12
	v_alignbit_b32 v8, v10, v8, v12
	;; [unrolled: 1-line block ×3, first 2 shown]
	v_ffbh_u32_e32 v10, v9
	v_min_u32_e32 v10, 32, v10
	v_lshrrev_b32_e32 v15, 29, v2
	v_not_b32_e32 v12, v10
	v_alignbit_b32 v8, v9, v8, v12
	v_lshlrev_b32_e32 v9, 31, v15
	v_or_b32_e32 v12, 0x33000000, v9
	v_add_lshl_u32 v10, v10, v11, 23
	v_lshrrev_b32_e32 v8, 9, v8
	v_sub_u32_e32 v10, v12, v10
	v_or_b32_e32 v9, 0.5, v9
	v_lshlrev_b32_e32 v11, 23, v11
	v_or_b32_e32 v8, v10, v8
	v_lshrrev_b32_e32 v10, 9, v13
	v_sub_u32_e32 v9, v9, v11
	v_or_b32_e32 v9, v10, v9
	s_mov_b32 s0, 0x3fc90fda
	v_mul_f32_e32 v10, 0x3fc90fda, v9
	v_fma_f32 v11, v9, s0, -v10
	v_fmac_f32_e32 v11, 0x33a22168, v9
	v_fmac_f32_e32 v11, 0x3fc90fda, v8
	v_lshrrev_b32_e32 v2, 30, v2
	v_add_f32_e32 v8, v10, v11
	v_add_u32_e32 v9, v17, v2
	s_andn2_saveexec_b64 s[0:1], s[6:7]
	s_cbranch_execnz .LBB23_17
	s_branch .LBB23_18
.LBB23_16:
	s_andn2_saveexec_b64 s[0:1], s[6:7]
	s_cbranch_execz .LBB23_18
.LBB23_17:
	s_mov_b32 s2, 0x3f22f983
	v_mul_f32_e64 v2, |v3|, s2
	v_rndne_f32_e32 v2, v2
	s_mov_b32 s2, 0xbfc90fda
	v_cvt_i32_f32_e32 v9, v2
	v_fma_f32 v8, v2, s2, |v3|
	v_fmac_f32_e32 v8, 0xb3a22168, v2
	v_fmac_f32_e32 v8, 0xa7c234c4, v2
.LBB23_18:
	s_or_b64 exec, exec, s[0:1]
	v_ashrrev_i32_e32 v2, 31, v1
	s_lshr_b32 s0, s17, 31
	v_lshlrev_b64 v[1:2], 2, v[1:2]
	s_add_i32 s0, s17, s0
	s_ashr_i32 s0, s0, 1
	v_mov_b32_e32 v10, s9
	v_add_co_u32_e32 v1, vcc, s8, v1
	s_ashr_i32 s1, s0, 31
	v_addc_co_u32_e32 v2, vcc, v10, v2, vcc
	s_lshl_b64 s[2:3], s[0:1], 2
	v_mov_b32_e32 v11, s3
	v_add_co_u32_e32 v10, vcc, s2, v1
	v_addc_co_u32_e32 v11, vcc, v2, v11, vcc
	global_load_dword v12, v[1:2], off
	global_load_dword v13, v[10:11], off
	v_ashrrev_i32_e32 v1, 31, v0
	v_lshlrev_b64 v[0:1], 1, v[0:1]
	v_mul_f32_e32 v2, v6, v6
	v_mov_b32_e32 v11, 0x3c0881c4
	v_mov_b32_e32 v16, 0xbab64f3b
	v_mov_b32_e32 v17, s11
	v_add_co_u32_e32 v0, vcc, s10, v0
	v_mov_b32_e32 v10, 0x3c0881c4
	v_mov_b32_e32 v14, 0xbe2aaa9d
	;; [unrolled: 1-line block ×3, first 2 shown]
	v_addc_co_u32_e32 v1, vcc, v17, v1, vcc
	v_mov_b32_e32 v17, 0x3d2aabf7
	v_mul_f32_e32 v19, v8, v8
	v_fmac_f32_e32 v11, 0xb94c1982, v2
	v_fmac_f32_e32 v16, 0x37d75334, v2
	v_mov_b32_e32 v18, 0xbf000004
	v_fmac_f32_e32 v10, 0xb94c1982, v19
	v_fma_f32 v11, v2, v11, v14
	v_fmac_f32_e32 v15, 0x37d75334, v19
	v_fma_f32 v16, v2, v16, v17
	v_fmac_f32_e32 v14, v19, v10
	v_and_b32_e32 v10, 1, v7
	v_fmac_f32_e32 v17, v19, v15
	v_mul_f32_e32 v11, v2, v11
	v_fma_f32 v16, v2, v16, v18
	v_lshlrev_b32_e32 v15, 30, v9
	v_and_b32_e32 v9, 1, v9
	v_mul_f32_e32 v14, v19, v14
	v_fmac_f32_e32 v18, v19, v17
	v_fmac_f32_e32 v6, v6, v11
	v_fma_f32 v2, v2, v16, 1.0
	v_cmp_eq_u32_e32 vcc, 0, v10
	v_lshlrev_b32_e32 v7, 30, v7
	v_xor_b32_e32 v5, v5, v3
	v_and_b32_e32 v15, 0x80000000, v15
	v_fmac_f32_e32 v8, v8, v14
	v_fma_f32 v11, v19, v18, 1.0
	v_cndmask_b32_e64 v2, -v6, v2, vcc
	v_cmp_eq_u32_e32 vcc, 0, v9
	v_xor_b32_e32 v5, v5, v15
	v_and_b32_e32 v7, 0x80000000, v7
	s_lshl_b64 s[0:1], s[0:1], 1
	v_cndmask_b32_e32 v6, v11, v8, vcc
	v_mov_b32_e32 v8, s1
	v_xor_b32_e32 v2, v7, v2
	v_xor_b32_e32 v7, v5, v6
	v_add_co_u32_e32 v5, vcc, s0, v0
	s_movk_i32 s2, 0x1f8
	v_addc_co_u32_e32 v6, vcc, v1, v8, vcc
	v_mov_b32_e32 v15, 0x7fc00000
	v_cmp_class_f32_e64 vcc, v3, s2
	v_cndmask_b32_e32 v3, v15, v7, vcc
	v_cndmask_b32_e32 v2, v15, v2, vcc
	v_mul_f32_e64 v3, v3, -v4
	v_mul_f32_e32 v2, v4, v2
	s_waitcnt vmcnt(1)
	v_mul_f32_e32 v4, v12, v3
	s_waitcnt vmcnt(0)
	v_mul_f32_e32 v3, v13, v3
	v_fma_mixlo_f16 v4, v2, v13, v4
	v_fma_mixlo_f16 v2, v2, v12, -v3
	global_store_short v[0:1], v2, off
	global_store_short v[5:6], v4, off
.LBB23_19:
	s_endpgm
	.section	.rodata,"a",@progbits
	.p2align	6, 0x0
	.amdhsa_kernel _ZL9rope_neoxILb0ELb1Ef6__halfEvPKT1_PT2_iiiiiiiiiiPKifff14rope_corr_dimsfPKfPKli
		.amdhsa_group_segment_fixed_size 0
		.amdhsa_private_segment_fixed_size 0
		.amdhsa_kernarg_size 368
		.amdhsa_user_sgpr_count 6
		.amdhsa_user_sgpr_private_segment_buffer 1
		.amdhsa_user_sgpr_dispatch_ptr 0
		.amdhsa_user_sgpr_queue_ptr 0
		.amdhsa_user_sgpr_kernarg_segment_ptr 1
		.amdhsa_user_sgpr_dispatch_id 0
		.amdhsa_user_sgpr_flat_scratch_init 0
		.amdhsa_user_sgpr_private_segment_size 0
		.amdhsa_uses_dynamic_stack 0
		.amdhsa_system_sgpr_private_segment_wavefront_offset 0
		.amdhsa_system_sgpr_workgroup_id_x 1
		.amdhsa_system_sgpr_workgroup_id_y 1
		.amdhsa_system_sgpr_workgroup_id_z 0
		.amdhsa_system_sgpr_workgroup_info 0
		.amdhsa_system_vgpr_workitem_id 1
		.amdhsa_next_free_vgpr 20
		.amdhsa_next_free_sgpr 18
		.amdhsa_reserve_vcc 1
		.amdhsa_reserve_flat_scratch 0
		.amdhsa_float_round_mode_32 0
		.amdhsa_float_round_mode_16_64 0
		.amdhsa_float_denorm_mode_32 3
		.amdhsa_float_denorm_mode_16_64 3
		.amdhsa_dx10_clamp 1
		.amdhsa_ieee_mode 1
		.amdhsa_fp16_overflow 0
		.amdhsa_exception_fp_ieee_invalid_op 0
		.amdhsa_exception_fp_denorm_src 0
		.amdhsa_exception_fp_ieee_div_zero 0
		.amdhsa_exception_fp_ieee_overflow 0
		.amdhsa_exception_fp_ieee_underflow 0
		.amdhsa_exception_fp_ieee_inexact 0
		.amdhsa_exception_int_div_zero 0
	.end_amdhsa_kernel
	.section	.text._ZL9rope_neoxILb0ELb1Ef6__halfEvPKT1_PT2_iiiiiiiiiiPKifff14rope_corr_dimsfPKfPKli,"axG",@progbits,_ZL9rope_neoxILb0ELb1Ef6__halfEvPKT1_PT2_iiiiiiiiiiPKifff14rope_corr_dimsfPKfPKli,comdat
.Lfunc_end23:
	.size	_ZL9rope_neoxILb0ELb1Ef6__halfEvPKT1_PT2_iiiiiiiiiiPKifff14rope_corr_dimsfPKfPKli, .Lfunc_end23-_ZL9rope_neoxILb0ELb1Ef6__halfEvPKT1_PT2_iiiiiiiiiiPKifff14rope_corr_dimsfPKfPKli
                                        ; -- End function
	.set _ZL9rope_neoxILb0ELb1Ef6__halfEvPKT1_PT2_iiiiiiiiiiPKifff14rope_corr_dimsfPKfPKli.num_vgpr, 20
	.set _ZL9rope_neoxILb0ELb1Ef6__halfEvPKT1_PT2_iiiiiiiiiiPKifff14rope_corr_dimsfPKfPKli.num_agpr, 0
	.set _ZL9rope_neoxILb0ELb1Ef6__halfEvPKT1_PT2_iiiiiiiiiiPKifff14rope_corr_dimsfPKfPKli.numbered_sgpr, 18
	.set _ZL9rope_neoxILb0ELb1Ef6__halfEvPKT1_PT2_iiiiiiiiiiPKifff14rope_corr_dimsfPKfPKli.num_named_barrier, 0
	.set _ZL9rope_neoxILb0ELb1Ef6__halfEvPKT1_PT2_iiiiiiiiiiPKifff14rope_corr_dimsfPKfPKli.private_seg_size, 0
	.set _ZL9rope_neoxILb0ELb1Ef6__halfEvPKT1_PT2_iiiiiiiiiiPKifff14rope_corr_dimsfPKfPKli.uses_vcc, 1
	.set _ZL9rope_neoxILb0ELb1Ef6__halfEvPKT1_PT2_iiiiiiiiiiPKifff14rope_corr_dimsfPKfPKli.uses_flat_scratch, 0
	.set _ZL9rope_neoxILb0ELb1Ef6__halfEvPKT1_PT2_iiiiiiiiiiPKifff14rope_corr_dimsfPKfPKli.has_dyn_sized_stack, 0
	.set _ZL9rope_neoxILb0ELb1Ef6__halfEvPKT1_PT2_iiiiiiiiiiPKifff14rope_corr_dimsfPKfPKli.has_recursion, 0
	.set _ZL9rope_neoxILb0ELb1Ef6__halfEvPKT1_PT2_iiiiiiiiiiPKifff14rope_corr_dimsfPKfPKli.has_indirect_call, 0
	.section	.AMDGPU.csdata,"",@progbits
; Kernel info:
; codeLenInByte = 3916
; TotalNumSgprs: 22
; NumVgprs: 20
; ScratchSize: 0
; MemoryBound: 0
; FloatMode: 240
; IeeeMode: 1
; LDSByteSize: 0 bytes/workgroup (compile time only)
; SGPRBlocks: 2
; VGPRBlocks: 4
; NumSGPRsForWavesPerEU: 22
; NumVGPRsForWavesPerEU: 20
; Occupancy: 10
; WaveLimiterHint : 0
; COMPUTE_PGM_RSRC2:SCRATCH_EN: 0
; COMPUTE_PGM_RSRC2:USER_SGPR: 6
; COMPUTE_PGM_RSRC2:TRAP_HANDLER: 0
; COMPUTE_PGM_RSRC2:TGID_X_EN: 1
; COMPUTE_PGM_RSRC2:TGID_Y_EN: 1
; COMPUTE_PGM_RSRC2:TGID_Z_EN: 0
; COMPUTE_PGM_RSRC2:TIDIG_COMP_CNT: 1
	.section	.text._ZL9rope_neoxILb0ELb0E6__halfS0_EvPKT1_PT2_iiiiiiiiiiPKifff14rope_corr_dimsfPKfPKli,"axG",@progbits,_ZL9rope_neoxILb0ELb0E6__halfS0_EvPKT1_PT2_iiiiiiiiiiPKifff14rope_corr_dimsfPKfPKli,comdat
	.globl	_ZL9rope_neoxILb0ELb0E6__halfS0_EvPKT1_PT2_iiiiiiiiiiPKifff14rope_corr_dimsfPKfPKli ; -- Begin function _ZL9rope_neoxILb0ELb0E6__halfS0_EvPKT1_PT2_iiiiiiiiiiPKifff14rope_corr_dimsfPKfPKli
	.p2align	8
	.type	_ZL9rope_neoxILb0ELb0E6__halfS0_EvPKT1_PT2_iiiiiiiiiiPKifff14rope_corr_dimsfPKfPKli,@function
_ZL9rope_neoxILb0ELb0E6__halfS0_EvPKT1_PT2_iiiiiiiiiiPKifff14rope_corr_dimsfPKfPKli: ; @_ZL9rope_neoxILb0ELb0E6__halfS0_EvPKT1_PT2_iiiiiiiiiiPKifff14rope_corr_dimsfPKfPKli
; %bb.0:
	s_load_dword s2, s[4:5], 0x7c
	s_load_dwordx8 s[8:15], s[4:5], 0x10
	s_add_u32 s0, s4, 0x70
	s_addc_u32 s1, s5, 0
	s_waitcnt lgkmcnt(0)
	s_lshr_b32 s2, s2, 16
	s_mul_i32 s7, s7, s2
	v_add_lshl_u32 v5, s7, v1, 1
	v_cmp_gt_i32_e32 vcc, s8, v5
	s_and_saveexec_b64 s[2:3], vcc
	s_cbranch_execz .LBB24_19
; %bb.1:
	s_mul_i32 s2, s10, s9
	s_abs_i32 s3, s2
	v_cvt_f32_u32_e32 v1, s3
	s_load_dword s0, s[0:1], 0xc
	s_sub_i32 s1, 0, s3
	v_cvt_f32_u32_e32 v2, s9
	v_rcp_iflag_f32_e32 v1, v1
	s_waitcnt lgkmcnt(0)
	s_and_b32 s0, s0, 0xffff
	s_mul_i32 s6, s6, s0
	v_mul_f32_e32 v1, 0x4f7ffffe, v1
	v_cvt_u32_f32_e32 v1, v1
	v_add_u32_e32 v0, s6, v0
	v_sub_u32_e32 v4, 0, v0
	v_max_i32_e32 v4, v0, v4
	v_mul_lo_u32 v3, s1, v1
	v_rcp_iflag_f32_e32 v2, v2
	s_sub_i32 s0, 0, s9
	v_xor_b32_e32 v6, s2, v0
	v_mul_hi_u32 v3, v1, v3
	v_mul_f32_e32 v2, 0x4f7ffffe, v2
	v_cvt_u32_f32_e32 v2, v2
	v_ashrrev_i32_e32 v6, 31, v6
	v_add_u32_e32 v1, v1, v3
	v_mul_hi_u32 v1, v4, v1
	v_mul_lo_u32 v3, s0, v2
	s_load_dword s0, s[4:5], 0x68
	s_load_dwordx2 s[6:7], s[4:5], 0x30
	v_mul_lo_u32 v7, v1, s3
	v_add_u32_e32 v8, 1, v1
	v_mul_hi_u32 v3, v2, v3
	s_waitcnt lgkmcnt(0)
	s_cmp_eq_u32 s0, 0
	v_sub_u32_e32 v4, v4, v7
	v_cmp_le_u32_e32 vcc, s3, v4
	v_subrev_u32_e32 v7, s3, v4
	v_cndmask_b32_e32 v1, v1, v8, vcc
	v_cndmask_b32_e32 v4, v4, v7, vcc
	v_add_u32_e32 v7, 1, v1
	v_cmp_le_u32_e32 vcc, s3, v4
	v_cndmask_b32_e32 v1, v1, v7, vcc
	v_xor_b32_e32 v1, v1, v6
	v_sub_u32_e32 v6, v1, v6
	v_mul_lo_u32 v1, s2, v6
	v_add_u32_e32 v2, v2, v3
	v_sub_u32_e32 v7, v0, v1
	v_mul_hi_u32 v0, v7, v2
	v_mul_lo_u32 v1, v0, s9
	v_add_u32_e32 v2, 1, v0
	v_sub_u32_e32 v1, v7, v1
	v_cmp_le_u32_e32 vcc, s9, v1
	v_cndmask_b32_e32 v0, v0, v2, vcc
	v_subrev_u32_e32 v2, s9, v1
	v_cndmask_b32_e32 v1, v1, v2, vcc
	v_add_u32_e32 v2, 1, v0
	v_cmp_le_u32_e32 vcc, s9, v1
	v_cndmask_b32_e32 v3, v0, v2, vcc
	s_cbranch_scc1 .LBB24_3
; %bb.2:
	s_load_dwordx2 s[2:3], s[4:5], 0x60
	v_mov_b32_e32 v4, 0
	v_lshlrev_b64 v[0:1], 3, v[3:4]
	s_waitcnt lgkmcnt(0)
	v_mov_b32_e32 v2, s3
	v_add_co_u32_e32 v0, vcc, s2, v0
	v_addc_co_u32_e32 v1, vcc, v2, v1, vcc
	global_load_dword v0, v[0:1], off
	s_waitcnt vmcnt(0)
	v_mul_lo_u32 v0, s0, v0
	s_branch .LBB24_4
.LBB24_3:
	v_mul_lo_u32 v0, v6, s6
	v_mad_u64_u32 v[0:1], s[0:1], v3, s15, v[0:1]
.LBB24_4:
	v_mul_lo_u32 v1, v3, s9
	v_ashrrev_i32_e32 v2, 1, v5
	v_mul_lo_u32 v4, v3, s12
	v_cmp_le_i32_e32 vcc, s7, v5
	v_sub_u32_e32 v1, v7, v1
	v_mad_u64_u32 v[6:7], s[0:1], v6, s13, v[2:3]
	v_mul_lo_u32 v8, v1, s11
	v_mul_lo_u32 v7, v1, s14
	s_load_dwordx4 s[8:11], s[4:5], 0x0
	v_add3_u32 v1, v6, v4, v8
	v_add3_u32 v0, v7, v2, v0
	s_and_saveexec_b64 s[0:1], vcc
	s_xor_b64 s[0:1], exec, s[0:1]
	s_cbranch_execz .LBB24_6
; %bb.5:
	v_add_u32_e32 v3, v1, v2
	v_ashrrev_i32_e32 v4, 31, v3
	v_lshlrev_b64 v[3:4], 1, v[3:4]
	s_waitcnt lgkmcnt(0)
	v_mov_b32_e32 v1, s9
	v_add_co_u32_e32 v3, vcc, s8, v3
	v_addc_co_u32_e32 v4, vcc, v1, v4, vcc
	global_load_ushort v5, v[3:4], off
	v_add_u32_e32 v0, v0, v2
	v_ashrrev_i32_e32 v1, 31, v0
	v_lshlrev_b64 v[0:1], 1, v[0:1]
	v_mov_b32_e32 v2, s11
	v_add_co_u32_e32 v0, vcc, s10, v0
	v_addc_co_u32_e32 v1, vcc, v2, v1, vcc
	s_waitcnt vmcnt(0)
	global_store_short v[0:1], v5, off
	global_load_ushort v2, v[3:4], off offset:2
                                        ; implicit-def: $vgpr3
                                        ; implicit-def: $vgpr5
	s_waitcnt vmcnt(0)
	global_store_short v[0:1], v2, off offset:2
                                        ; implicit-def: $vgpr1
                                        ; implicit-def: $vgpr0
                                        ; implicit-def: $vgpr2
.LBB24_6:
	s_andn2_saveexec_b64 s[0:1], s[0:1]
	s_cbranch_execz .LBB24_19
; %bb.7:
	s_load_dwordx2 s[0:1], s[4:5], 0x38
	v_mov_b32_e32 v4, 0
	v_lshlrev_b64 v[3:4], 2, v[3:4]
	v_mov_b32_e32 v9, 0x3ecccdef
	s_brev_b32 s6, -2
	s_waitcnt lgkmcnt(0)
	v_mov_b32_e32 v6, s1
	v_add_co_u32_e32 v3, vcc, s0, v3
	v_addc_co_u32_e32 v4, vcc, v6, v4, vcc
	global_load_dword v6, v[3:4], off
	s_load_dwordx4 s[12:15], s[4:5], 0x40
	s_load_dwordx2 s[16:17], s[4:5], 0x50
	v_cvt_f32_i32_e32 v3, v5
	s_mov_b32 s0, 0x3f2aaaab
	v_mov_b32_e32 v5, 0x3e91f4c4
	s_mov_b32 s1, 0x3f317218
	v_mul_f32_e32 v3, 0.5, v3
	s_waitcnt lgkmcnt(0)
	v_cmp_neq_f32_e64 vcc, s17, 1.0
	v_cndmask_b32_e32 v4, 1.0, v3, vcc
	v_mov_b32_e32 v3, s17
	v_cmp_neq_f32_e32 vcc, 0, v4
	v_cndmask_b32_e32 v3, 1.0, v3, vcc
	v_frexp_mant_f32_e64 v10, |v3|
	v_cmp_gt_f32_e32 vcc, s0, v10
	v_cndmask_b32_e64 v11, 1.0, 2.0, vcc
	v_mul_f32_e32 v10, v10, v11
	v_add_f32_e32 v12, 1.0, v10
	v_cvt_f64_f32_e64 v[7:8], |v3|
	v_rcp_f32_e32 v13, v12
	v_add_f32_e32 v11, -1.0, v10
	v_add_f32_e32 v14, -1.0, v12
	v_frexp_exp_i32_f64_e32 v7, v[7:8]
	v_sub_f32_e32 v8, v10, v14
	v_mul_f32_e32 v10, v11, v13
	v_mul_f32_e32 v14, v12, v10
	v_fma_f32 v12, v10, v12, -v14
	v_fmac_f32_e32 v12, v10, v8
	v_add_f32_e32 v8, v14, v12
	v_sub_f32_e32 v15, v11, v8
	v_sub_f32_e32 v14, v8, v14
	;; [unrolled: 1-line block ×5, first 2 shown]
	v_add_f32_e32 v8, v12, v8
	v_add_f32_e32 v8, v15, v8
	v_mul_f32_e32 v8, v13, v8
	v_add_f32_e32 v12, v10, v8
	v_sub_f32_e32 v10, v12, v10
	v_mul_f32_e32 v13, v12, v12
	v_sub_f32_e32 v8, v8, v10
	v_fma_f32 v10, v12, v12, -v13
	v_add_f32_e32 v14, v8, v8
	v_fmac_f32_e32 v10, v12, v14
	v_add_f32_e32 v14, v13, v10
	v_fmac_f32_e32 v5, 0x3e76c4e1, v14
	v_sub_f32_e32 v13, v14, v13
	v_mul_f32_e32 v15, v12, v14
	v_fmac_f32_e32 v9, v14, v5
	v_sub_f32_e32 v5, v10, v13
	v_fma_f32 v10, v14, v12, -v15
	v_fmac_f32_e32 v10, v14, v8
	v_mul_f32_e32 v13, v14, v9
	v_fmac_f32_e32 v10, v5, v12
	v_fma_f32 v14, v14, v9, -v13
	v_add_f32_e32 v16, v15, v10
	v_fmac_f32_e32 v14, v5, v9
	v_sub_f32_e32 v5, v16, v15
	v_add_f32_e32 v9, v13, v14
	v_sub_f32_e32 v5, v10, v5
	v_add_f32_e32 v10, 0x3f2aaaaa, v9
	v_sub_f32_e32 v13, v9, v13
	v_sub_f32_e32 v13, v14, v13
	v_add_f32_e32 v14, 0xbf2aaaaa, v10
	v_subbrev_co_u32_e32 v7, vcc, 0, v7, vcc
	v_add_f32_e32 v13, 0x31739010, v13
	v_sub_f32_e32 v9, v9, v14
	v_cvt_f32_i32_e32 v7, v7
	v_add_f32_e32 v9, v13, v9
	v_add_f32_e32 v13, v10, v9
	v_sub_f32_e32 v10, v10, v13
	v_mul_f32_e32 v14, v16, v13
	v_add_f32_e32 v9, v9, v10
	v_fma_f32 v10, v16, v13, -v14
	v_mul_f32_e32 v11, 0x3f317218, v7
	v_fmac_f32_e32 v10, v16, v9
	v_fmac_f32_e32 v10, v5, v13
	s_movk_i32 s5, 0x204
	s_mov_b32 s0, 0x42b17218
	s_mov_b32 s4, 0x7f800000
	s_waitcnt vmcnt(0)
	v_cvt_f32_i32_e32 v5, v6
	v_fma_f32 v6, v7, s1, -v11
	v_fmac_f32_e32 v6, 0xb102e308, v7
	v_add_f32_e32 v9, v11, v6
	v_sub_f32_e32 v11, v9, v11
	v_sub_f32_e32 v6, v6, v11
	v_add_f32_e32 v11, v14, v10
	v_ldexp_f32 v7, v8, 1
	v_ldexp_f32 v8, v12, 1
	v_sub_f32_e32 v12, v11, v14
	v_sub_f32_e32 v10, v10, v12
	v_add_f32_e32 v12, v8, v11
	v_sub_f32_e32 v8, v12, v8
	v_sub_f32_e32 v8, v11, v8
	v_add_f32_e32 v7, v7, v10
	v_add_f32_e32 v7, v7, v8
	;; [unrolled: 1-line block ×3, first 2 shown]
	v_sub_f32_e32 v10, v8, v12
	v_sub_f32_e32 v7, v7, v10
	v_add_f32_e32 v10, v9, v8
	v_sub_f32_e32 v11, v10, v9
	v_sub_f32_e32 v12, v10, v11
	;; [unrolled: 1-line block ×4, first 2 shown]
	v_add_f32_e32 v8, v8, v9
	v_add_f32_e32 v9, v6, v7
	v_sub_f32_e32 v11, v9, v6
	v_sub_f32_e32 v12, v9, v11
	;; [unrolled: 1-line block ×4, first 2 shown]
	v_add_f32_e32 v6, v7, v6
	v_add_f32_e32 v7, v9, v8
	;; [unrolled: 1-line block ×3, first 2 shown]
	v_sub_f32_e32 v9, v8, v10
	v_sub_f32_e32 v7, v7, v9
	v_add_f32_e32 v6, v6, v7
	v_add_f32_e32 v7, v8, v6
	v_sub_f32_e32 v8, v7, v8
	v_sub_f32_e32 v6, v6, v8
	v_mul_f32_e32 v8, v4, v7
	v_fma_f32 v7, v4, v7, -v8
	v_fmac_f32_e32 v7, v4, v6
	v_add_f32_e32 v6, v8, v7
	v_cmp_class_f32_e64 vcc, v8, s5
	v_sub_f32_e32 v9, v6, v8
	v_cndmask_b32_e32 v6, v6, v8, vcc
	v_mov_b32_e32 v8, 0x37000000
	v_cmp_eq_f32_e32 vcc, s0, v6
	v_cndmask_b32_e32 v8, 0, v8, vcc
	v_sub_f32_e32 v7, v7, v9
	v_sub_f32_e32 v9, v6, v8
	s_mov_b32 s1, 0x3fb8aa3b
	v_mul_f32_e32 v10, 0x3fb8aa3b, v9
	v_fma_f32 v11, v9, s1, -v10
	v_rndne_f32_e32 v12, v10
	v_fmac_f32_e32 v11, 0x32a5705f, v9
	v_sub_f32_e32 v10, v10, v12
	v_add_f32_e32 v10, v10, v11
	v_exp_f32_e32 v10, v10
	v_cvt_i32_f32_e32 v11, v12
	v_cmp_neq_f32_e64 vcc, |v6|, s4
	s_mov_b32 s1, 0xc2ce8ed0
	v_cndmask_b32_e32 v6, 0, v7, vcc
	v_ldexp_f32 v7, v10, v11
	v_cmp_ngt_f32_e32 vcc, s1, v9
	v_add_f32_e32 v6, v8, v6
	v_cndmask_b32_e32 v7, 0, v7, vcc
	v_mov_b32_e32 v8, 0x7f800000
	v_cmp_nlt_f32_e32 vcc, s0, v9
	v_cndmask_b32_e32 v7, v8, v7, vcc
	v_fma_f32 v6, v7, v6, v7
	v_cmp_class_f32_e64 vcc, v7, s5
	v_cndmask_b32_e32 v6, v6, v7, vcc
	v_trunc_f32_e32 v7, v4
	v_cmp_eq_f32_e32 vcc, v7, v4
	v_mul_f32_e32 v7, 0.5, v4
	v_trunc_f32_e32 v10, v7
	v_cmp_neq_f32_e64 s[0:1], v10, v7
	s_and_b64 s[0:1], vcc, s[0:1]
	v_cndmask_b32_e64 v7, 1.0, v3, s[0:1]
	v_mov_b32_e32 v9, 0x7fc00000
	v_bfi_b32 v6, s6, v6, v7
	v_cmp_neq_f32_e64 s[2:3], v4, |v4|
	v_cmp_lt_f32_e64 s[18:19], |v3|, 1.0
	v_cndmask_b32_e32 v7, v9, v6, vcc
	v_cmp_gt_f32_e32 vcc, 0, v3
	s_xor_b64 s[2:3], s[2:3], s[18:19]
	v_cndmask_b32_e32 v6, v6, v7, vcc
	v_cndmask_b32_e64 v7, v8, 0, s[2:3]
	v_cmp_neq_f32_e64 vcc, |v3|, 1.0
	v_cndmask_b32_e32 v7, 1.0, v7, vcc
	v_cmp_class_f32_e64 vcc, v4, s5
	v_cndmask_b32_e32 v6, v6, v7, vcc
	v_cmp_eq_f32_e32 vcc, 0, v3
	v_cmp_gt_f32_e64 s[2:3], 0, v4
	s_xor_b64 s[2:3], s[2:3], vcc
	v_cmp_class_f32_e64 s[18:19], v3, s5
	v_cndmask_b32_e64 v4, v8, 0, s[2:3]
	v_cndmask_b32_e64 v7, 0, v3, s[0:1]
	v_bfi_b32 v4, s6, v4, v7
	s_or_b64 vcc, vcc, s[18:19]
	v_cndmask_b32_e32 v4, v6, v4, vcc
	v_cmp_o_f32_e32 vcc, v3, v3
	v_cndmask_b32_e32 v3, v9, v4, vcc
	v_mul_f32_e32 v5, v3, v5
	v_cmp_eq_f32_e64 s[0:1], s13, 0
	v_mul_f32_e32 v3, s12, v5
	s_and_b64 vcc, exec, s[0:1]
	s_cbranch_vccnz .LBB24_9
; %bb.8:
	v_cvt_f32_i32_e32 v2, v2
	v_div_scale_f32 v6, s[0:1], s12, s12, 1.0
	v_mov_b32_e32 v4, s15
	v_sub_f32_e32 v4, s16, v4
	v_subrev_f32_e32 v2, s15, v2
	v_max_f32_e32 v4, 0x3a83126f, v4
	v_div_scale_f32 v7, s[0:1], v4, v4, v2
	v_div_scale_f32 v8, s[0:1], 1.0, s12, 1.0
	v_div_scale_f32 v9, vcc, v2, v4, v2
	s_mov_b32 s2, 0x3f317217
	v_rcp_f32_e32 v10, v6
	v_fma_f32 v11, -v6, v10, 1.0
	v_fmac_f32_e32 v10, v11, v10
	v_rcp_f32_e32 v12, v7
	v_mul_f32_e32 v11, v8, v10
	v_fma_f32 v13, -v6, v11, v8
	v_fmac_f32_e32 v11, v13, v10
	v_fma_f32 v13, -v7, v12, 1.0
	v_fmac_f32_e32 v12, v13, v12
	v_fma_f32 v6, -v6, v11, v8
	v_mul_f32_e32 v8, v9, v12
	v_fma_f32 v13, -v7, v8, v9
	v_fmac_f32_e32 v8, v13, v12
	v_fma_f32 v7, -v7, v8, v9
	v_div_fmas_f32 v7, v7, v12, v8
	s_mov_b64 vcc, s[0:1]
	v_div_fmas_f32 v6, v6, v10, v11
	s_mov_b32 s0, 0x800000
	v_mov_b32_e32 v8, 0x41b17218
	v_div_fixup_f32 v2, v7, v4, v2 clamp
	v_sub_f32_e32 v2, 1.0, v2
	v_div_fixup_f32 v4, v6, s12, 1.0
	v_cmp_gt_f32_e32 vcc, s0, v4
	s_and_b64 s[0:1], vcc, exec
	s_cselect_b32 s0, 32, 0
	v_ldexp_f32 v4, v4, s0
	v_log_f32_e32 v4, v4
	v_mul_f32_e32 v6, s13, v2
	v_fma_f32 v2, -s13, v2, 1.0
	v_mul_f32_e32 v3, v2, v3
	v_mul_f32_e32 v2, 0x3f317217, v4
	v_fma_f32 v2, v4, s2, -v2
	v_fmac_f32_e32 v2, 0x3377d1cf, v4
	v_cndmask_b32_e32 v7, 0, v8, vcc
	v_fmac_f32_e32 v2, 0x3f317217, v4
	v_cmp_lt_f32_e64 vcc, |v4|, s4
	v_cndmask_b32_e32 v2, v4, v2, vcc
	v_sub_f32_e32 v2, v2, v7
	s_mov_b32 s0, 0x3dcccccd
	v_fma_f32 v2, v2, s0, 1.0
	v_fmac_f32_e32 v3, v6, v5
	v_mul_f32_e32 v4, s14, v2
	s_branch .LBB24_10
.LBB24_9:
	v_mov_b32_e32 v4, s14
.LBB24_10:
	v_and_b32_e32 v5, 0x7fffffff, v3
	s_brev_b32 s0, 18
	v_cmp_nlt_f32_e64 s[12:13], |v3|, s0
	v_lshrrev_b32_e32 v2, 23, v5
                                        ; implicit-def: $vgpr7
                                        ; implicit-def: $vgpr6
	s_and_saveexec_b64 s[0:1], s[12:13]
	s_xor_b64 s[14:15], exec, s[0:1]
	s_cbranch_execz .LBB24_12
; %bb.11:
	v_and_b32_e32 v6, 0x7fffff, v5
	v_or_b32_e32 v15, 0x800000, v6
	s_mov_b32 s0, 0xfe5163ab
	v_mad_u64_u32 v[6:7], s[0:1], v15, s0, 0
	v_mov_b32_e32 v8, 0
	s_mov_b32 s0, 0x3c439041
	v_mad_u64_u32 v[9:10], s[0:1], v15, s0, v[7:8]
	s_mov_b32 s0, 0xdb629599
	v_add_u32_e32 v14, 0xffffff88, v2
	v_mov_b32_e32 v7, v10
	v_mad_u64_u32 v[10:11], s[0:1], v15, s0, v[7:8]
	s_mov_b32 s0, 0xf534ddc0
	v_not_b32_e32 v16, 63
	v_mov_b32_e32 v7, v11
	v_mad_u64_u32 v[11:12], s[0:1], v15, s0, v[7:8]
	s_mov_b32 s0, 0xfc2757d1
	v_cmp_lt_u32_e32 vcc, 63, v14
	v_mov_b32_e32 v7, v12
	v_mad_u64_u32 v[12:13], s[0:1], v15, s0, v[7:8]
	v_cndmask_b32_e32 v7, 0, v16, vcc
	v_add_u32_e32 v16, v7, v14
	v_mov_b32_e32 v7, v13
	s_mov_b32 s0, 0x4e441529
	v_mad_u64_u32 v[13:14], s[0:1], v15, s0, v[7:8]
	v_not_b32_e32 v17, 31
	v_cmp_lt_u32_e64 s[0:1], 31, v16
	v_cndmask_b32_e64 v7, 0, v17, s[0:1]
	v_add_u32_e32 v16, v7, v16
	v_mov_b32_e32 v7, v14
	s_mov_b32 s2, 0xa2f9836e
	v_mad_u64_u32 v[7:8], s[2:3], v15, s2, v[7:8]
	v_cmp_lt_u32_e64 s[2:3], 31, v16
	v_cndmask_b32_e64 v14, 0, v17, s[2:3]
	v_cndmask_b32_e32 v15, v13, v11, vcc
	v_cndmask_b32_e32 v7, v7, v12, vcc
	;; [unrolled: 1-line block ×3, first 2 shown]
	v_add_u32_e32 v14, v14, v16
	v_cndmask_b32_e64 v16, v7, v15, s[0:1]
	v_cndmask_b32_e64 v7, v8, v7, s[0:1]
	v_cndmask_b32_e32 v8, v12, v10, vcc
	v_cndmask_b32_e64 v12, v15, v8, s[0:1]
	v_cndmask_b32_e32 v9, v11, v9, vcc
	v_cndmask_b32_e64 v7, v7, v16, s[2:3]
	v_cndmask_b32_e64 v13, v16, v12, s[2:3]
	v_sub_u32_e32 v15, 32, v14
	v_cndmask_b32_e64 v8, v8, v9, s[0:1]
	v_alignbit_b32 v16, v7, v13, v15
	v_cmp_eq_u32_e64 s[4:5], 0, v14
	v_cndmask_b32_e64 v11, v12, v8, s[2:3]
	v_cndmask_b32_e64 v7, v16, v7, s[4:5]
	v_alignbit_b32 v12, v13, v11, v15
	v_cndmask_b32_e32 v6, v10, v6, vcc
	v_cndmask_b32_e64 v12, v12, v13, s[4:5]
	v_bfe_u32 v16, v7, 29, 1
	v_cndmask_b32_e64 v6, v9, v6, s[0:1]
	v_alignbit_b32 v13, v7, v12, 30
	v_sub_u32_e32 v17, 0, v16
	v_cndmask_b32_e64 v6, v8, v6, s[2:3]
	v_xor_b32_e32 v13, v13, v17
	v_alignbit_b32 v8, v11, v6, v15
	v_cndmask_b32_e64 v8, v8, v11, s[4:5]
	v_ffbh_u32_e32 v10, v13
	v_alignbit_b32 v9, v12, v8, 30
	v_min_u32_e32 v10, 32, v10
	v_alignbit_b32 v6, v8, v6, 30
	v_xor_b32_e32 v9, v9, v17
	v_sub_u32_e32 v11, 31, v10
	v_xor_b32_e32 v6, v6, v17
	v_alignbit_b32 v12, v13, v9, v11
	v_alignbit_b32 v6, v9, v6, v11
	;; [unrolled: 1-line block ×3, first 2 shown]
	v_ffbh_u32_e32 v9, v8
	v_min_u32_e32 v9, 32, v9
	v_lshrrev_b32_e32 v14, 29, v7
	v_not_b32_e32 v11, v9
	v_alignbit_b32 v6, v8, v6, v11
	v_lshlrev_b32_e32 v8, 31, v14
	v_or_b32_e32 v11, 0x33000000, v8
	v_add_lshl_u32 v9, v9, v10, 23
	v_lshrrev_b32_e32 v6, 9, v6
	v_sub_u32_e32 v9, v11, v9
	v_or_b32_e32 v8, 0.5, v8
	v_lshlrev_b32_e32 v10, 23, v10
	v_or_b32_e32 v6, v9, v6
	v_lshrrev_b32_e32 v9, 9, v12
	v_sub_u32_e32 v8, v8, v10
	v_or_b32_e32 v8, v9, v8
	s_mov_b32 s0, 0x3fc90fda
	v_mul_f32_e32 v9, 0x3fc90fda, v8
	v_fma_f32 v10, v8, s0, -v9
	v_fmac_f32_e32 v10, 0x33a22168, v8
	v_fmac_f32_e32 v10, 0x3fc90fda, v6
	v_lshrrev_b32_e32 v7, 30, v7
	v_add_f32_e32 v6, v9, v10
	v_add_u32_e32 v7, v16, v7
	s_andn2_saveexec_b64 s[0:1], s[14:15]
	s_cbranch_execz .LBB24_14
	s_branch .LBB24_13
.LBB24_12:
	s_andn2_saveexec_b64 s[0:1], s[14:15]
	s_cbranch_execz .LBB24_14
.LBB24_13:
	s_mov_b32 s2, 0x3f22f983
	v_mul_f32_e64 v6, |v3|, s2
	v_rndne_f32_e32 v8, v6
	s_mov_b32 s2, 0xbfc90fda
	v_cvt_i32_f32_e32 v7, v8
	v_fma_f32 v6, v8, s2, |v3|
	v_fmac_f32_e32 v6, 0xb3a22168, v8
	v_fmac_f32_e32 v6, 0xa7c234c4, v8
.LBB24_14:
	s_or_b64 exec, exec, s[0:1]
                                        ; implicit-def: $vgpr9
                                        ; implicit-def: $vgpr8
	s_and_saveexec_b64 s[0:1], s[12:13]
	s_xor_b64 s[12:13], exec, s[0:1]
	s_cbranch_execz .LBB24_16
; %bb.15:
	v_and_b32_e32 v8, 0x7fffff, v5
	v_or_b32_e32 v17, 0x800000, v8
	s_mov_b32 s0, 0xfe5163ab
	v_mad_u64_u32 v[8:9], s[0:1], v17, s0, 0
	v_mov_b32_e32 v10, 0
	s_mov_b32 s0, 0x3c439041
	v_mad_u64_u32 v[11:12], s[0:1], v17, s0, v[9:10]
	s_mov_b32 s0, 0xdb629599
	v_add_u32_e32 v2, 0xffffff88, v2
	v_mov_b32_e32 v9, v12
	v_mad_u64_u32 v[12:13], s[0:1], v17, s0, v[9:10]
	s_mov_b32 s0, 0xf534ddc0
	v_not_b32_e32 v16, 63
	v_mov_b32_e32 v9, v13
	v_mad_u64_u32 v[13:14], s[0:1], v17, s0, v[9:10]
	s_mov_b32 s0, 0xfc2757d1
	v_cmp_lt_u32_e32 vcc, 63, v2
	v_mov_b32_e32 v9, v14
	v_mad_u64_u32 v[14:15], s[0:1], v17, s0, v[9:10]
	v_cndmask_b32_e32 v9, 0, v16, vcc
	v_add_u32_e32 v2, v9, v2
	v_mov_b32_e32 v9, v15
	s_mov_b32 s0, 0x4e441529
	v_mad_u64_u32 v[15:16], s[0:1], v17, s0, v[9:10]
	v_not_b32_e32 v18, 31
	v_cmp_lt_u32_e64 s[0:1], 31, v2
	v_cndmask_b32_e64 v9, 0, v18, s[0:1]
	v_add_u32_e32 v2, v9, v2
	v_mov_b32_e32 v9, v16
	s_mov_b32 s2, 0xa2f9836e
	v_mad_u64_u32 v[9:10], s[2:3], v17, s2, v[9:10]
	v_cmp_lt_u32_e64 s[2:3], 31, v2
	v_cndmask_b32_e64 v16, 0, v18, s[2:3]
	v_add_u32_e32 v2, v16, v2
	v_cndmask_b32_e32 v16, v15, v13, vcc
	v_cndmask_b32_e32 v9, v9, v14, vcc
	;; [unrolled: 1-line block ×3, first 2 shown]
	v_cndmask_b32_e64 v17, v9, v16, s[0:1]
	v_cndmask_b32_e64 v9, v10, v9, s[0:1]
	v_cndmask_b32_e32 v10, v14, v12, vcc
	v_cndmask_b32_e64 v14, v16, v10, s[0:1]
	v_cndmask_b32_e64 v9, v9, v17, s[2:3]
	v_cndmask_b32_e64 v15, v17, v14, s[2:3]
	v_sub_u32_e32 v16, 32, v2
	v_alignbit_b32 v17, v9, v15, v16
	v_cmp_eq_u32_e64 s[4:5], 0, v2
	v_cndmask_b32_e64 v2, v17, v9, s[4:5]
	v_cndmask_b32_e32 v9, v13, v11, vcc
	v_cndmask_b32_e64 v10, v10, v9, s[0:1]
	v_cndmask_b32_e64 v11, v14, v10, s[2:3]
	v_alignbit_b32 v13, v15, v11, v16
	v_cndmask_b32_e32 v8, v12, v8, vcc
	v_cndmask_b32_e64 v13, v13, v15, s[4:5]
	v_bfe_u32 v17, v2, 29, 1
	v_cndmask_b32_e64 v8, v9, v8, s[0:1]
	v_alignbit_b32 v14, v2, v13, 30
	v_sub_u32_e32 v18, 0, v17
	v_cndmask_b32_e64 v8, v10, v8, s[2:3]
	v_xor_b32_e32 v14, v14, v18
	v_alignbit_b32 v9, v11, v8, v16
	v_cndmask_b32_e64 v9, v9, v11, s[4:5]
	v_ffbh_u32_e32 v11, v14
	v_alignbit_b32 v10, v13, v9, 30
	v_min_u32_e32 v11, 32, v11
	v_alignbit_b32 v8, v9, v8, 30
	v_xor_b32_e32 v10, v10, v18
	v_sub_u32_e32 v12, 31, v11
	v_xor_b32_e32 v8, v8, v18
	v_alignbit_b32 v13, v14, v10, v12
	v_alignbit_b32 v8, v10, v8, v12
	;; [unrolled: 1-line block ×3, first 2 shown]
	v_ffbh_u32_e32 v10, v9
	v_min_u32_e32 v10, 32, v10
	v_lshrrev_b32_e32 v15, 29, v2
	v_not_b32_e32 v12, v10
	v_alignbit_b32 v8, v9, v8, v12
	v_lshlrev_b32_e32 v9, 31, v15
	v_or_b32_e32 v12, 0x33000000, v9
	v_add_lshl_u32 v10, v10, v11, 23
	v_lshrrev_b32_e32 v8, 9, v8
	v_sub_u32_e32 v10, v12, v10
	v_or_b32_e32 v9, 0.5, v9
	v_lshlrev_b32_e32 v11, 23, v11
	v_or_b32_e32 v8, v10, v8
	v_lshrrev_b32_e32 v10, 9, v13
	v_sub_u32_e32 v9, v9, v11
	v_or_b32_e32 v9, v10, v9
	s_mov_b32 s0, 0x3fc90fda
	v_mul_f32_e32 v10, 0x3fc90fda, v9
	v_fma_f32 v11, v9, s0, -v10
	v_fmac_f32_e32 v11, 0x33a22168, v9
	v_fmac_f32_e32 v11, 0x3fc90fda, v8
	v_lshrrev_b32_e32 v2, 30, v2
	v_add_f32_e32 v8, v10, v11
	v_add_u32_e32 v9, v17, v2
	s_andn2_saveexec_b64 s[0:1], s[12:13]
	s_cbranch_execnz .LBB24_17
	s_branch .LBB24_18
.LBB24_16:
	s_andn2_saveexec_b64 s[0:1], s[12:13]
	s_cbranch_execz .LBB24_18
.LBB24_17:
	s_mov_b32 s2, 0x3f22f983
	v_mul_f32_e64 v2, |v3|, s2
	v_rndne_f32_e32 v2, v2
	s_mov_b32 s2, 0xbfc90fda
	v_cvt_i32_f32_e32 v9, v2
	v_fma_f32 v8, v2, s2, |v3|
	v_fmac_f32_e32 v8, 0xb3a22168, v2
	v_fmac_f32_e32 v8, 0xa7c234c4, v2
.LBB24_18:
	s_or_b64 exec, exec, s[0:1]
	v_ashrrev_i32_e32 v2, 31, v1
	s_lshr_b32 s0, s7, 31
	v_lshlrev_b64 v[1:2], 1, v[1:2]
	s_add_i32 s0, s7, s0
	s_ashr_i32 s0, s0, 1
	v_mov_b32_e32 v10, s9
	v_add_co_u32_e32 v1, vcc, s8, v1
	s_ashr_i32 s1, s0, 31
	v_addc_co_u32_e32 v2, vcc, v10, v2, vcc
	s_lshl_b64 s[0:1], s[0:1], 1
	global_load_ushort v10, v[1:2], off
	v_mov_b32_e32 v11, s1
	v_add_co_u32_e32 v1, vcc, s0, v1
	v_addc_co_u32_e32 v2, vcc, v2, v11, vcc
	global_load_ushort v2, v[1:2], off
	v_ashrrev_i32_e32 v1, 31, v0
	v_lshlrev_b64 v[0:1], 1, v[0:1]
	v_mov_b32_e32 v17, s11
	v_add_co_u32_e32 v0, vcc, s10, v0
	v_mul_f32_e32 v12, v6, v6
	v_mov_b32_e32 v16, 0xbab64f3b
	v_addc_co_u32_e32 v1, vcc, v17, v1, vcc
	v_mov_b32_e32 v17, 0xbab64f3b
	v_mul_f32_e32 v19, v8, v8
	v_mov_b32_e32 v13, 0x3c0881c4
	v_mov_b32_e32 v14, 0x3c0881c4
	;; [unrolled: 1-line block ×3, first 2 shown]
	v_fmac_f32_e32 v17, 0x37d75334, v12
	v_fmac_f32_e32 v16, 0x37d75334, v19
	v_mov_b32_e32 v15, 0xbe2aaa9d
	v_fmac_f32_e32 v14, 0xb94c1982, v12
	v_fmac_f32_e32 v13, 0xb94c1982, v19
	v_fma_f32 v17, v12, v17, v18
	v_fmac_f32_e32 v18, v19, v16
	v_lshlrev_b32_e32 v16, 30, v9
	v_fma_f32 v14, v12, v14, v15
	v_fmac_f32_e32 v15, v19, v13
	v_mov_b32_e32 v13, 0xbf000004
	v_xor_b32_e32 v5, v5, v3
	v_and_b32_e32 v16, 0x80000000, v16
	v_xor_b32_e32 v5, v5, v16
	v_and_b32_e32 v16, 1, v7
	v_fma_f32 v17, v12, v17, v13
	v_mul_f32_e32 v14, v12, v14
	v_fmac_f32_e32 v13, v19, v18
	v_and_b32_e32 v9, 1, v9
	v_mul_f32_e32 v15, v19, v15
	v_fmac_f32_e32 v6, v6, v14
	v_fma_f32 v12, v12, v17, 1.0
	v_cmp_eq_u32_e32 vcc, 0, v16
	v_fmac_f32_e32 v8, v8, v15
	v_fma_f32 v13, v19, v13, 1.0
	v_cndmask_b32_e64 v6, -v6, v12, vcc
	v_cmp_eq_u32_e32 vcc, 0, v9
	v_lshlrev_b32_e32 v7, 30, v7
	v_cndmask_b32_e32 v8, v13, v8, vcc
	v_and_b32_e32 v7, 0x80000000, v7
	v_xor_b32_e32 v8, v5, v8
	v_add_co_u32_e32 v5, vcc, s0, v0
	s_movk_i32 s1, 0x1f8
	v_xor_b32_e32 v7, v7, v6
	v_addc_co_u32_e32 v6, vcc, v1, v11, vcc
	v_mov_b32_e32 v18, 0x7fc00000
	v_cmp_class_f32_e64 vcc, v3, s1
	v_cndmask_b32_e32 v3, v18, v7, vcc
	v_cndmask_b32_e32 v7, v18, v8, vcc
	v_mul_f32_e32 v3, v4, v3
	v_mul_f32_e64 v4, v7, -v4
	s_waitcnt vmcnt(1)
	v_cvt_f32_f16_e32 v8, v10
	v_mul_f32_e32 v7, v4, v8
	s_waitcnt vmcnt(0)
	v_cvt_f32_f16_e32 v9, v2
	v_fma_mixlo_f16 v2, v3, v2, v7 op_sel_hi:[0,1,0]
	v_mul_f32_e32 v4, v4, v9
	v_fma_mixlo_f16 v3, v3, v10, -v4 op_sel_hi:[0,1,0]
	global_store_short v[0:1], v3, off
	global_store_short v[5:6], v2, off
.LBB24_19:
	s_endpgm
	.section	.rodata,"a",@progbits
	.p2align	6, 0x0
	.amdhsa_kernel _ZL9rope_neoxILb0ELb0E6__halfS0_EvPKT1_PT2_iiiiiiiiiiPKifff14rope_corr_dimsfPKfPKli
		.amdhsa_group_segment_fixed_size 0
		.amdhsa_private_segment_fixed_size 0
		.amdhsa_kernarg_size 368
		.amdhsa_user_sgpr_count 6
		.amdhsa_user_sgpr_private_segment_buffer 1
		.amdhsa_user_sgpr_dispatch_ptr 0
		.amdhsa_user_sgpr_queue_ptr 0
		.amdhsa_user_sgpr_kernarg_segment_ptr 1
		.amdhsa_user_sgpr_dispatch_id 0
		.amdhsa_user_sgpr_flat_scratch_init 0
		.amdhsa_user_sgpr_private_segment_size 0
		.amdhsa_uses_dynamic_stack 0
		.amdhsa_system_sgpr_private_segment_wavefront_offset 0
		.amdhsa_system_sgpr_workgroup_id_x 1
		.amdhsa_system_sgpr_workgroup_id_y 1
		.amdhsa_system_sgpr_workgroup_id_z 0
		.amdhsa_system_sgpr_workgroup_info 0
		.amdhsa_system_vgpr_workitem_id 1
		.amdhsa_next_free_vgpr 20
		.amdhsa_next_free_sgpr 20
		.amdhsa_reserve_vcc 1
		.amdhsa_reserve_flat_scratch 0
		.amdhsa_float_round_mode_32 0
		.amdhsa_float_round_mode_16_64 0
		.amdhsa_float_denorm_mode_32 3
		.amdhsa_float_denorm_mode_16_64 3
		.amdhsa_dx10_clamp 1
		.amdhsa_ieee_mode 1
		.amdhsa_fp16_overflow 0
		.amdhsa_exception_fp_ieee_invalid_op 0
		.amdhsa_exception_fp_denorm_src 0
		.amdhsa_exception_fp_ieee_div_zero 0
		.amdhsa_exception_fp_ieee_overflow 0
		.amdhsa_exception_fp_ieee_underflow 0
		.amdhsa_exception_fp_ieee_inexact 0
		.amdhsa_exception_int_div_zero 0
	.end_amdhsa_kernel
	.section	.text._ZL9rope_neoxILb0ELb0E6__halfS0_EvPKT1_PT2_iiiiiiiiiiPKifff14rope_corr_dimsfPKfPKli,"axG",@progbits,_ZL9rope_neoxILb0ELb0E6__halfS0_EvPKT1_PT2_iiiiiiiiiiPKifff14rope_corr_dimsfPKfPKli,comdat
.Lfunc_end24:
	.size	_ZL9rope_neoxILb0ELb0E6__halfS0_EvPKT1_PT2_iiiiiiiiiiPKifff14rope_corr_dimsfPKfPKli, .Lfunc_end24-_ZL9rope_neoxILb0ELb0E6__halfS0_EvPKT1_PT2_iiiiiiiiiiPKifff14rope_corr_dimsfPKfPKli
                                        ; -- End function
	.set _ZL9rope_neoxILb0ELb0E6__halfS0_EvPKT1_PT2_iiiiiiiiiiPKifff14rope_corr_dimsfPKfPKli.num_vgpr, 20
	.set _ZL9rope_neoxILb0ELb0E6__halfS0_EvPKT1_PT2_iiiiiiiiiiPKifff14rope_corr_dimsfPKfPKli.num_agpr, 0
	.set _ZL9rope_neoxILb0ELb0E6__halfS0_EvPKT1_PT2_iiiiiiiiiiPKifff14rope_corr_dimsfPKfPKli.numbered_sgpr, 20
	.set _ZL9rope_neoxILb0ELb0E6__halfS0_EvPKT1_PT2_iiiiiiiiiiPKifff14rope_corr_dimsfPKfPKli.num_named_barrier, 0
	.set _ZL9rope_neoxILb0ELb0E6__halfS0_EvPKT1_PT2_iiiiiiiiiiPKifff14rope_corr_dimsfPKfPKli.private_seg_size, 0
	.set _ZL9rope_neoxILb0ELb0E6__halfS0_EvPKT1_PT2_iiiiiiiiiiPKifff14rope_corr_dimsfPKfPKli.uses_vcc, 1
	.set _ZL9rope_neoxILb0ELb0E6__halfS0_EvPKT1_PT2_iiiiiiiiiiPKifff14rope_corr_dimsfPKfPKli.uses_flat_scratch, 0
	.set _ZL9rope_neoxILb0ELb0E6__halfS0_EvPKT1_PT2_iiiiiiiiiiPKifff14rope_corr_dimsfPKfPKli.has_dyn_sized_stack, 0
	.set _ZL9rope_neoxILb0ELb0E6__halfS0_EvPKT1_PT2_iiiiiiiiiiPKifff14rope_corr_dimsfPKfPKli.has_recursion, 0
	.set _ZL9rope_neoxILb0ELb0E6__halfS0_EvPKT1_PT2_iiiiiiiiiiPKifff14rope_corr_dimsfPKfPKli.has_indirect_call, 0
	.section	.AMDGPU.csdata,"",@progbits
; Kernel info:
; codeLenInByte = 3796
; TotalNumSgprs: 24
; NumVgprs: 20
; ScratchSize: 0
; MemoryBound: 0
; FloatMode: 240
; IeeeMode: 1
; LDSByteSize: 0 bytes/workgroup (compile time only)
; SGPRBlocks: 2
; VGPRBlocks: 4
; NumSGPRsForWavesPerEU: 24
; NumVGPRsForWavesPerEU: 20
; Occupancy: 10
; WaveLimiterHint : 0
; COMPUTE_PGM_RSRC2:SCRATCH_EN: 0
; COMPUTE_PGM_RSRC2:USER_SGPR: 6
; COMPUTE_PGM_RSRC2:TRAP_HANDLER: 0
; COMPUTE_PGM_RSRC2:TGID_X_EN: 1
; COMPUTE_PGM_RSRC2:TGID_Y_EN: 1
; COMPUTE_PGM_RSRC2:TGID_Z_EN: 0
; COMPUTE_PGM_RSRC2:TIDIG_COMP_CNT: 1
	.section	.text._ZL9rope_neoxILb0ELb1E6__halfS0_EvPKT1_PT2_iiiiiiiiiiPKifff14rope_corr_dimsfPKfPKli,"axG",@progbits,_ZL9rope_neoxILb0ELb1E6__halfS0_EvPKT1_PT2_iiiiiiiiiiPKifff14rope_corr_dimsfPKfPKli,comdat
	.globl	_ZL9rope_neoxILb0ELb1E6__halfS0_EvPKT1_PT2_iiiiiiiiiiPKifff14rope_corr_dimsfPKfPKli ; -- Begin function _ZL9rope_neoxILb0ELb1E6__halfS0_EvPKT1_PT2_iiiiiiiiiiPKifff14rope_corr_dimsfPKfPKli
	.p2align	8
	.type	_ZL9rope_neoxILb0ELb1E6__halfS0_EvPKT1_PT2_iiiiiiiiiiPKifff14rope_corr_dimsfPKfPKli,@function
_ZL9rope_neoxILb0ELb1E6__halfS0_EvPKT1_PT2_iiiiiiiiiiPKifff14rope_corr_dimsfPKfPKli: ; @_ZL9rope_neoxILb0ELb1E6__halfS0_EvPKT1_PT2_iiiiiiiiiiPKifff14rope_corr_dimsfPKfPKli
; %bb.0:
	s_load_dword s2, s[4:5], 0x7c
	s_load_dwordx8 s[8:15], s[4:5], 0x10
	s_add_u32 s0, s4, 0x70
	s_addc_u32 s1, s5, 0
	s_waitcnt lgkmcnt(0)
	s_lshr_b32 s2, s2, 16
	s_mul_i32 s7, s7, s2
	v_add_lshl_u32 v5, s7, v1, 1
	v_cmp_gt_i32_e32 vcc, s8, v5
	s_and_saveexec_b64 s[2:3], vcc
	s_cbranch_execz .LBB25_19
; %bb.1:
	s_mul_i32 s2, s10, s9
	s_abs_i32 s3, s2
	v_cvt_f32_u32_e32 v1, s3
	s_load_dword s0, s[0:1], 0xc
	s_sub_i32 s1, 0, s3
	v_cvt_f32_u32_e32 v2, s9
	v_rcp_iflag_f32_e32 v1, v1
	s_waitcnt lgkmcnt(0)
	s_and_b32 s0, s0, 0xffff
	s_mul_i32 s6, s6, s0
	v_mul_f32_e32 v1, 0x4f7ffffe, v1
	v_cvt_u32_f32_e32 v1, v1
	v_add_u32_e32 v0, s6, v0
	v_sub_u32_e32 v4, 0, v0
	v_max_i32_e32 v4, v0, v4
	v_mul_lo_u32 v3, s1, v1
	v_rcp_iflag_f32_e32 v2, v2
	s_sub_i32 s0, 0, s9
	v_xor_b32_e32 v6, s2, v0
	v_mul_hi_u32 v3, v1, v3
	v_mul_f32_e32 v2, 0x4f7ffffe, v2
	v_cvt_u32_f32_e32 v2, v2
	v_ashrrev_i32_e32 v6, 31, v6
	v_add_u32_e32 v1, v1, v3
	v_mul_hi_u32 v1, v4, v1
	v_mul_lo_u32 v3, s0, v2
	s_load_dword s6, s[4:5], 0x68
	v_mul_lo_u32 v7, v1, s3
	v_add_u32_e32 v8, 1, v1
	v_mul_hi_u32 v3, v2, v3
	s_waitcnt lgkmcnt(0)
	s_cmp_eq_u32 s6, 0
	v_sub_u32_e32 v4, v4, v7
	v_cmp_le_u32_e32 vcc, s3, v4
	v_subrev_u32_e32 v7, s3, v4
	v_cndmask_b32_e32 v1, v1, v8, vcc
	v_cndmask_b32_e32 v4, v4, v7, vcc
	v_add_u32_e32 v7, 1, v1
	v_cmp_le_u32_e32 vcc, s3, v4
	v_cndmask_b32_e32 v1, v1, v7, vcc
	v_xor_b32_e32 v1, v1, v6
	v_sub_u32_e32 v6, v1, v6
	v_mul_lo_u32 v1, s2, v6
	v_add_u32_e32 v2, v2, v3
	s_load_dwordx2 s[16:17], s[4:5], 0x30
	s_load_dwordx4 s[0:3], s[4:5], 0x58
	v_sub_u32_e32 v7, v0, v1
	v_mul_hi_u32 v0, v7, v2
	v_mul_lo_u32 v1, v0, s9
	v_add_u32_e32 v2, 1, v0
	v_sub_u32_e32 v1, v7, v1
	v_cmp_le_u32_e32 vcc, s9, v1
	v_cndmask_b32_e32 v0, v0, v2, vcc
	v_subrev_u32_e32 v2, s9, v1
	v_cndmask_b32_e32 v1, v1, v2, vcc
	v_add_u32_e32 v2, 1, v0
	v_cmp_le_u32_e32 vcc, s9, v1
	v_cndmask_b32_e32 v3, v0, v2, vcc
	s_cbranch_scc1 .LBB25_3
; %bb.2:
	v_mov_b32_e32 v4, 0
	v_lshlrev_b64 v[0:1], 3, v[3:4]
	s_waitcnt lgkmcnt(0)
	v_mov_b32_e32 v2, s3
	v_add_co_u32_e32 v0, vcc, s2, v0
	v_addc_co_u32_e32 v1, vcc, v2, v1, vcc
	global_load_dword v0, v[0:1], off
	s_waitcnt vmcnt(0)
	v_mul_lo_u32 v0, s6, v0
	s_branch .LBB25_4
.LBB25_3:
	s_waitcnt lgkmcnt(0)
	v_mul_lo_u32 v0, v6, s16
	v_mad_u64_u32 v[0:1], s[2:3], v3, s15, v[0:1]
.LBB25_4:
	v_mul_lo_u32 v1, v3, s9
	v_ashrrev_i32_e32 v2, 1, v5
	v_mul_lo_u32 v4, v3, s12
	v_cmp_le_i32_e32 vcc, s17, v5
	v_sub_u32_e32 v1, v7, v1
	v_mad_u64_u32 v[6:7], s[2:3], v6, s13, v[2:3]
	v_mul_lo_u32 v8, v1, s11
	v_mul_lo_u32 v7, v1, s14
	s_load_dwordx4 s[8:11], s[4:5], 0x0
	v_add3_u32 v1, v6, v4, v8
	v_add3_u32 v0, v7, v2, v0
	s_and_saveexec_b64 s[2:3], vcc
	s_xor_b64 s[2:3], exec, s[2:3]
	s_cbranch_execz .LBB25_6
; %bb.5:
	v_add_u32_e32 v3, v1, v2
	v_ashrrev_i32_e32 v4, 31, v3
	v_lshlrev_b64 v[3:4], 1, v[3:4]
	s_waitcnt lgkmcnt(0)
	v_mov_b32_e32 v1, s9
	v_add_co_u32_e32 v3, vcc, s8, v3
	v_addc_co_u32_e32 v4, vcc, v1, v4, vcc
	global_load_ushort v5, v[3:4], off
	v_add_u32_e32 v0, v0, v2
	v_ashrrev_i32_e32 v1, 31, v0
	v_lshlrev_b64 v[0:1], 1, v[0:1]
	v_mov_b32_e32 v2, s11
	v_add_co_u32_e32 v0, vcc, s10, v0
	v_addc_co_u32_e32 v1, vcc, v2, v1, vcc
	s_waitcnt vmcnt(0)
	global_store_short v[0:1], v5, off
	global_load_ushort v2, v[3:4], off offset:2
                                        ; implicit-def: $vgpr3
                                        ; implicit-def: $vgpr5
	s_waitcnt vmcnt(0)
	global_store_short v[0:1], v2, off offset:2
                                        ; implicit-def: $vgpr1
                                        ; implicit-def: $vgpr0
                                        ; implicit-def: $vgpr2
.LBB25_6:
	s_andn2_saveexec_b64 s[2:3], s[2:3]
	s_cbranch_execz .LBB25_19
; %bb.7:
	s_load_dwordx2 s[2:3], s[4:5], 0x38
	s_load_dwordx2 s[12:13], s[4:5], 0x50
	v_mov_b32_e32 v4, 0
	v_lshlrev_b64 v[3:4], 2, v[3:4]
	v_mov_b32_e32 v8, 0x3e91f4c4
	s_waitcnt lgkmcnt(0)
	v_mov_b32_e32 v6, s3
	v_add_co_u32_e32 v3, vcc, s2, v3
	v_addc_co_u32_e32 v4, vcc, v6, v4, vcc
	global_load_dword v3, v[3:4], off
	v_cvt_f32_i32_e32 v4, v5
	v_cmp_neq_f32_e64 vcc, s13, 1.0
	s_mov_b32 s2, 0x3f2aaaab
	v_mov_b32_e32 v9, 0x3ecccdef
	v_mul_f32_e32 v4, 0.5, v4
	v_cndmask_b32_e32 v5, 1.0, v4, vcc
	v_mov_b32_e32 v4, s13
	v_cmp_neq_f32_e32 vcc, 0, v5
	v_cndmask_b32_e32 v4, 1.0, v4, vcc
	v_frexp_mant_f32_e64 v10, |v4|
	v_cmp_gt_f32_e32 vcc, s2, v10
	v_cvt_f64_f32_e64 v[6:7], |v4|
	v_cndmask_b32_e64 v11, 1.0, 2.0, vcc
	v_mul_f32_e32 v10, v10, v11
	v_add_f32_e32 v12, 1.0, v10
	v_rcp_f32_e32 v13, v12
	v_frexp_exp_i32_f64_e32 v6, v[6:7]
	v_add_f32_e32 v11, -1.0, v10
	v_add_f32_e32 v14, -1.0, v12
	v_sub_f32_e32 v7, v10, v14
	v_mul_f32_e32 v10, v11, v13
	v_mul_f32_e32 v14, v12, v10
	v_fma_f32 v12, v10, v12, -v14
	v_fmac_f32_e32 v12, v10, v7
	v_add_f32_e32 v7, v14, v12
	v_subbrev_co_u32_e32 v6, vcc, 0, v6, vcc
	v_sub_f32_e32 v15, v11, v7
	v_sub_f32_e32 v14, v7, v14
	v_cvt_f32_i32_e32 v16, v6
	v_sub_f32_e32 v6, v11, v15
	v_sub_f32_e32 v11, v14, v12
	;; [unrolled: 1-line block ×3, first 2 shown]
	v_add_f32_e32 v6, v11, v6
	v_add_f32_e32 v6, v15, v6
	v_mul_f32_e32 v6, v13, v6
	v_add_f32_e32 v12, v10, v6
	v_sub_f32_e32 v10, v12, v10
	v_mul_f32_e32 v13, v12, v12
	v_sub_f32_e32 v10, v6, v10
	v_fma_f32 v6, v12, v12, -v13
	v_add_f32_e32 v14, v10, v10
	v_fmac_f32_e32 v6, v12, v14
	v_add_f32_e32 v14, v13, v6
	v_fmac_f32_e32 v8, 0x3e76c4e1, v14
	v_mul_f32_e32 v15, v12, v14
	v_sub_f32_e32 v13, v14, v13
	v_fmac_f32_e32 v9, v14, v8
	v_fma_f32 v8, v14, v12, -v15
	v_sub_f32_e32 v6, v6, v13
	v_fmac_f32_e32 v8, v14, v10
	v_mul_f32_e32 v13, v14, v9
	v_fmac_f32_e32 v8, v6, v12
	v_fma_f32 v14, v14, v9, -v13
	v_add_f32_e32 v17, v15, v8
	v_fmac_f32_e32 v14, v6, v9
	v_sub_f32_e32 v6, v17, v15
	v_add_f32_e32 v9, v13, v14
	v_sub_f32_e32 v6, v8, v6
	v_add_f32_e32 v8, 0x3f2aaaaa, v9
	v_sub_f32_e32 v13, v9, v13
	v_sub_f32_e32 v13, v14, v13
	v_add_f32_e32 v14, 0xbf2aaaaa, v8
	v_add_f32_e32 v13, 0x31739010, v13
	v_sub_f32_e32 v9, v9, v14
	v_add_f32_e32 v9, v13, v9
	v_add_f32_e32 v13, v8, v9
	s_mov_b32 s3, 0x3f317218
	v_mul_f32_e32 v7, 0x3f317218, v16
	v_sub_f32_e32 v8, v8, v13
	v_mul_f32_e32 v14, v17, v13
	v_fma_f32 v11, v16, s3, -v7
	v_add_f32_e32 v8, v9, v8
	v_fma_f32 v9, v17, v13, -v14
	v_fmac_f32_e32 v9, v17, v8
	v_fmac_f32_e32 v11, 0xb102e308, v16
	;; [unrolled: 1-line block ×3, first 2 shown]
	v_ldexp_f32 v8, v12, 1
	s_movk_i32 s14, 0x204
	s_waitcnt vmcnt(0)
	v_cvt_f32_i32_e32 v6, v3
	v_ldexp_f32 v3, v10, 1
	v_add_f32_e32 v10, v7, v11
	v_sub_f32_e32 v7, v10, v7
	v_sub_f32_e32 v7, v11, v7
	v_add_f32_e32 v11, v14, v9
	v_sub_f32_e32 v12, v11, v14
	v_sub_f32_e32 v9, v9, v12
	;; [unrolled: 3-line block ×3, first 2 shown]
	v_add_f32_e32 v3, v3, v9
	v_add_f32_e32 v3, v3, v8
	;; [unrolled: 1-line block ×3, first 2 shown]
	v_sub_f32_e32 v9, v8, v12
	v_sub_f32_e32 v3, v3, v9
	v_add_f32_e32 v9, v10, v8
	v_sub_f32_e32 v11, v9, v10
	v_sub_f32_e32 v12, v9, v11
	;; [unrolled: 1-line block ×4, first 2 shown]
	v_add_f32_e32 v11, v7, v3
	v_add_f32_e32 v10, v8, v10
	v_sub_f32_e32 v8, v11, v7
	v_sub_f32_e32 v12, v11, v8
	;; [unrolled: 1-line block ×4, first 2 shown]
	v_add_f32_e32 v12, v3, v7
	v_ashrrev_i32_e32 v3, 31, v2
	v_lshlrev_b64 v[7:8], 2, v[2:3]
	v_mov_b32_e32 v3, s1
	v_add_co_u32_e32 v7, vcc, s0, v7
	v_addc_co_u32_e32 v8, vcc, v3, v8, vcc
	global_load_dword v3, v[7:8], off
	v_add_f32_e32 v7, v11, v10
	v_add_f32_e32 v8, v9, v7
	v_sub_f32_e32 v9, v8, v9
	v_sub_f32_e32 v7, v7, v9
	v_add_f32_e32 v7, v12, v7
	v_add_f32_e32 v9, v8, v7
	v_sub_f32_e32 v8, v9, v8
	v_sub_f32_e32 v7, v7, v8
	v_mul_f32_e32 v8, v5, v9
	v_fma_f32 v9, v5, v9, -v8
	v_fmac_f32_e32 v9, v5, v7
	v_add_f32_e32 v7, v8, v9
	v_cmp_class_f32_e64 vcc, v8, s14
	v_sub_f32_e32 v10, v7, v8
	v_cndmask_b32_e32 v7, v7, v8, vcc
	s_mov_b32 s0, 0x42b17218
	v_mov_b32_e32 v8, 0x37000000
	v_cmp_eq_f32_e32 vcc, s0, v7
	v_cndmask_b32_e32 v8, 0, v8, vcc
	v_sub_f32_e32 v9, v9, v10
	v_sub_f32_e32 v10, v7, v8
	s_mov_b32 s1, 0x3fb8aa3b
	v_mul_f32_e32 v11, 0x3fb8aa3b, v10
	v_fma_f32 v12, v10, s1, -v11
	v_rndne_f32_e32 v13, v11
	v_fmac_f32_e32 v12, 0x32a5705f, v10
	v_sub_f32_e32 v11, v11, v13
	v_add_f32_e32 v11, v11, v12
	v_exp_f32_e32 v11, v11
	v_cvt_i32_f32_e32 v12, v13
	s_mov_b32 s13, 0x7f800000
	v_cmp_neq_f32_e64 vcc, |v7|, s13
	v_cndmask_b32_e32 v7, 0, v9, vcc
	s_mov_b32 s1, 0xc2ce8ed0
	v_add_f32_e32 v7, v8, v7
	v_ldexp_f32 v8, v11, v12
	v_cmp_ngt_f32_e32 vcc, s1, v10
	v_cndmask_b32_e32 v8, 0, v8, vcc
	v_mov_b32_e32 v9, 0x7f800000
	v_cmp_nlt_f32_e32 vcc, s0, v10
	v_cndmask_b32_e32 v8, v9, v8, vcc
	v_fma_f32 v7, v8, v7, v8
	v_cmp_class_f32_e64 vcc, v8, s14
	v_cndmask_b32_e32 v7, v7, v8, vcc
	v_trunc_f32_e32 v8, v5
	v_cmp_eq_f32_e32 vcc, v8, v5
	v_mul_f32_e32 v8, 0.5, v5
	v_trunc_f32_e32 v11, v8
	v_cmp_neq_f32_e64 s[0:1], v11, v8
	s_and_b64 s[0:1], vcc, s[0:1]
	v_cndmask_b32_e64 v8, 1.0, v4, s[0:1]
	s_brev_b32 s15, -2
	v_mov_b32_e32 v10, 0x7fc00000
	v_bfi_b32 v7, s15, v7, v8
	v_cmp_neq_f32_e64 s[2:3], v5, |v5|
	v_cmp_lt_f32_e64 s[6:7], |v4|, 1.0
	v_cndmask_b32_e32 v8, v10, v7, vcc
	v_cmp_gt_f32_e32 vcc, 0, v4
	s_xor_b64 s[2:3], s[2:3], s[6:7]
	v_cndmask_b32_e32 v7, v7, v8, vcc
	v_cndmask_b32_e64 v8, v9, 0, s[2:3]
	v_cmp_neq_f32_e64 vcc, |v4|, 1.0
	v_cndmask_b32_e32 v8, 1.0, v8, vcc
	v_cmp_class_f32_e64 vcc, v5, s14
	v_cndmask_b32_e32 v7, v7, v8, vcc
	v_cmp_eq_f32_e32 vcc, 0, v4
	v_cmp_gt_f32_e64 s[2:3], 0, v5
	s_xor_b64 s[2:3], s[2:3], vcc
	v_cmp_class_f32_e64 s[6:7], v4, s14
	v_cndmask_b32_e64 v5, v9, 0, s[2:3]
	v_cndmask_b32_e64 v8, 0, v4, s[0:1]
	v_bfi_b32 v5, s15, v5, v8
	s_or_b64 vcc, vcc, s[6:7]
	v_cndmask_b32_e32 v5, v7, v5, vcc
	v_cmp_o_f32_e32 vcc, v4, v4
	v_cndmask_b32_e32 v4, v10, v5, vcc
	v_mul_f32_e32 v4, v4, v6
	s_load_dwordx4 s[4:7], s[4:5], 0x40
	s_waitcnt vmcnt(0)
	v_div_scale_f32 v5, s[0:1], v3, v3, v4
	v_div_scale_f32 v6, vcc, v4, v3, v4
	s_waitcnt lgkmcnt(0)
	v_cmp_eq_f32_e64 s[0:1], s5, 0
	v_rcp_f32_e32 v7, v5
	v_fma_f32 v8, -v5, v7, 1.0
	v_fmac_f32_e32 v7, v8, v7
	v_mul_f32_e32 v8, v6, v7
	v_fma_f32 v9, -v5, v8, v6
	v_fmac_f32_e32 v8, v9, v7
	v_fma_f32 v5, -v5, v8, v6
	v_div_fmas_f32 v5, v5, v7, v8
	s_and_b64 vcc, exec, s[0:1]
	v_div_fixup_f32 v5, v5, v3, v4
	v_mul_f32_e32 v3, s4, v5
	s_cbranch_vccnz .LBB25_9
; %bb.8:
	v_cvt_f32_i32_e32 v2, v2
	v_div_scale_f32 v6, s[0:1], s4, s4, 1.0
	v_mov_b32_e32 v4, s7
	v_sub_f32_e32 v4, s12, v4
	v_subrev_f32_e32 v2, s7, v2
	v_max_f32_e32 v4, 0x3a83126f, v4
	v_div_scale_f32 v7, s[0:1], v4, v4, v2
	v_div_scale_f32 v8, s[0:1], 1.0, s4, 1.0
	v_div_scale_f32 v9, vcc, v2, v4, v2
	s_mov_b32 s2, 0x3f317217
	v_rcp_f32_e32 v10, v6
	v_fma_f32 v11, -v6, v10, 1.0
	v_fmac_f32_e32 v10, v11, v10
	v_rcp_f32_e32 v12, v7
	v_mul_f32_e32 v11, v8, v10
	v_fma_f32 v13, -v6, v11, v8
	v_fmac_f32_e32 v11, v13, v10
	v_fma_f32 v13, -v7, v12, 1.0
	v_fmac_f32_e32 v12, v13, v12
	v_fma_f32 v6, -v6, v11, v8
	v_mul_f32_e32 v8, v9, v12
	v_fma_f32 v13, -v7, v8, v9
	v_fmac_f32_e32 v8, v13, v12
	v_fma_f32 v7, -v7, v8, v9
	v_div_fmas_f32 v7, v7, v12, v8
	s_mov_b64 vcc, s[0:1]
	v_div_fmas_f32 v6, v6, v10, v11
	s_mov_b32 s0, 0x800000
	v_mov_b32_e32 v8, 0x41b17218
	v_div_fixup_f32 v2, v7, v4, v2 clamp
	v_sub_f32_e32 v2, 1.0, v2
	v_div_fixup_f32 v4, v6, s4, 1.0
	v_cmp_gt_f32_e32 vcc, s0, v4
	s_and_b64 s[0:1], vcc, exec
	s_cselect_b32 s0, 32, 0
	v_ldexp_f32 v4, v4, s0
	v_log_f32_e32 v4, v4
	v_mul_f32_e32 v6, s5, v2
	v_fma_f32 v2, -s5, v2, 1.0
	v_mul_f32_e32 v3, v2, v3
	v_mul_f32_e32 v2, 0x3f317217, v4
	v_fma_f32 v2, v4, s2, -v2
	v_fmac_f32_e32 v2, 0x3377d1cf, v4
	v_cndmask_b32_e32 v7, 0, v8, vcc
	v_fmac_f32_e32 v2, 0x3f317217, v4
	v_cmp_lt_f32_e64 vcc, |v4|, s13
	v_cndmask_b32_e32 v2, v4, v2, vcc
	v_sub_f32_e32 v2, v2, v7
	s_mov_b32 s0, 0x3dcccccd
	v_fma_f32 v2, v2, s0, 1.0
	v_fmac_f32_e32 v3, v6, v5
	v_mul_f32_e32 v4, s6, v2
	s_branch .LBB25_10
.LBB25_9:
	v_mov_b32_e32 v4, s6
.LBB25_10:
	v_and_b32_e32 v5, 0x7fffffff, v3
	s_brev_b32 s0, 18
	v_cmp_nlt_f32_e64 s[6:7], |v3|, s0
	v_lshrrev_b32_e32 v2, 23, v5
                                        ; implicit-def: $vgpr7
                                        ; implicit-def: $vgpr6
	s_and_saveexec_b64 s[0:1], s[6:7]
	s_xor_b64 s[12:13], exec, s[0:1]
	s_cbranch_execz .LBB25_12
; %bb.11:
	v_and_b32_e32 v6, 0x7fffff, v5
	v_or_b32_e32 v15, 0x800000, v6
	s_mov_b32 s0, 0xfe5163ab
	v_mad_u64_u32 v[6:7], s[0:1], v15, s0, 0
	v_mov_b32_e32 v8, 0
	s_mov_b32 s0, 0x3c439041
	v_mad_u64_u32 v[9:10], s[0:1], v15, s0, v[7:8]
	s_mov_b32 s0, 0xdb629599
	v_add_u32_e32 v14, 0xffffff88, v2
	v_mov_b32_e32 v7, v10
	v_mad_u64_u32 v[10:11], s[0:1], v15, s0, v[7:8]
	s_mov_b32 s0, 0xf534ddc0
	v_not_b32_e32 v16, 63
	v_mov_b32_e32 v7, v11
	v_mad_u64_u32 v[11:12], s[0:1], v15, s0, v[7:8]
	s_mov_b32 s0, 0xfc2757d1
	v_cmp_lt_u32_e32 vcc, 63, v14
	v_mov_b32_e32 v7, v12
	v_mad_u64_u32 v[12:13], s[0:1], v15, s0, v[7:8]
	v_cndmask_b32_e32 v7, 0, v16, vcc
	v_add_u32_e32 v16, v7, v14
	v_mov_b32_e32 v7, v13
	s_mov_b32 s0, 0x4e441529
	v_mad_u64_u32 v[13:14], s[0:1], v15, s0, v[7:8]
	v_not_b32_e32 v17, 31
	v_cmp_lt_u32_e64 s[0:1], 31, v16
	v_cndmask_b32_e64 v7, 0, v17, s[0:1]
	v_add_u32_e32 v16, v7, v16
	v_mov_b32_e32 v7, v14
	s_mov_b32 s2, 0xa2f9836e
	v_mad_u64_u32 v[7:8], s[2:3], v15, s2, v[7:8]
	v_cmp_lt_u32_e64 s[2:3], 31, v16
	v_cndmask_b32_e64 v14, 0, v17, s[2:3]
	v_cndmask_b32_e32 v15, v13, v11, vcc
	v_cndmask_b32_e32 v7, v7, v12, vcc
	;; [unrolled: 1-line block ×3, first 2 shown]
	v_add_u32_e32 v14, v14, v16
	v_cndmask_b32_e64 v16, v7, v15, s[0:1]
	v_cndmask_b32_e64 v7, v8, v7, s[0:1]
	v_cndmask_b32_e32 v8, v12, v10, vcc
	v_cndmask_b32_e64 v12, v15, v8, s[0:1]
	v_cndmask_b32_e32 v9, v11, v9, vcc
	v_cndmask_b32_e64 v7, v7, v16, s[2:3]
	v_cndmask_b32_e64 v13, v16, v12, s[2:3]
	v_sub_u32_e32 v15, 32, v14
	v_cndmask_b32_e64 v8, v8, v9, s[0:1]
	v_alignbit_b32 v16, v7, v13, v15
	v_cmp_eq_u32_e64 s[4:5], 0, v14
	v_cndmask_b32_e64 v11, v12, v8, s[2:3]
	v_cndmask_b32_e64 v7, v16, v7, s[4:5]
	v_alignbit_b32 v12, v13, v11, v15
	v_cndmask_b32_e32 v6, v10, v6, vcc
	v_cndmask_b32_e64 v12, v12, v13, s[4:5]
	v_bfe_u32 v16, v7, 29, 1
	v_cndmask_b32_e64 v6, v9, v6, s[0:1]
	v_alignbit_b32 v13, v7, v12, 30
	v_sub_u32_e32 v17, 0, v16
	v_cndmask_b32_e64 v6, v8, v6, s[2:3]
	v_xor_b32_e32 v13, v13, v17
	v_alignbit_b32 v8, v11, v6, v15
	v_cndmask_b32_e64 v8, v8, v11, s[4:5]
	v_ffbh_u32_e32 v10, v13
	v_alignbit_b32 v9, v12, v8, 30
	v_min_u32_e32 v10, 32, v10
	v_alignbit_b32 v6, v8, v6, 30
	v_xor_b32_e32 v9, v9, v17
	v_sub_u32_e32 v11, 31, v10
	v_xor_b32_e32 v6, v6, v17
	v_alignbit_b32 v12, v13, v9, v11
	v_alignbit_b32 v6, v9, v6, v11
	;; [unrolled: 1-line block ×3, first 2 shown]
	v_ffbh_u32_e32 v9, v8
	v_min_u32_e32 v9, 32, v9
	v_lshrrev_b32_e32 v14, 29, v7
	v_not_b32_e32 v11, v9
	v_alignbit_b32 v6, v8, v6, v11
	v_lshlrev_b32_e32 v8, 31, v14
	v_or_b32_e32 v11, 0x33000000, v8
	v_add_lshl_u32 v9, v9, v10, 23
	v_lshrrev_b32_e32 v6, 9, v6
	v_sub_u32_e32 v9, v11, v9
	v_or_b32_e32 v8, 0.5, v8
	v_lshlrev_b32_e32 v10, 23, v10
	v_or_b32_e32 v6, v9, v6
	v_lshrrev_b32_e32 v9, 9, v12
	v_sub_u32_e32 v8, v8, v10
	v_or_b32_e32 v8, v9, v8
	s_mov_b32 s0, 0x3fc90fda
	v_mul_f32_e32 v9, 0x3fc90fda, v8
	v_fma_f32 v10, v8, s0, -v9
	v_fmac_f32_e32 v10, 0x33a22168, v8
	v_fmac_f32_e32 v10, 0x3fc90fda, v6
	v_lshrrev_b32_e32 v7, 30, v7
	v_add_f32_e32 v6, v9, v10
	v_add_u32_e32 v7, v16, v7
	s_andn2_saveexec_b64 s[0:1], s[12:13]
	s_cbranch_execz .LBB25_14
	s_branch .LBB25_13
.LBB25_12:
	s_andn2_saveexec_b64 s[0:1], s[12:13]
	s_cbranch_execz .LBB25_14
.LBB25_13:
	s_mov_b32 s2, 0x3f22f983
	v_mul_f32_e64 v6, |v3|, s2
	v_rndne_f32_e32 v8, v6
	s_mov_b32 s2, 0xbfc90fda
	v_cvt_i32_f32_e32 v7, v8
	v_fma_f32 v6, v8, s2, |v3|
	v_fmac_f32_e32 v6, 0xb3a22168, v8
	v_fmac_f32_e32 v6, 0xa7c234c4, v8
.LBB25_14:
	s_or_b64 exec, exec, s[0:1]
                                        ; implicit-def: $vgpr9
                                        ; implicit-def: $vgpr8
	s_and_saveexec_b64 s[0:1], s[6:7]
	s_xor_b64 s[6:7], exec, s[0:1]
	s_cbranch_execz .LBB25_16
; %bb.15:
	v_and_b32_e32 v8, 0x7fffff, v5
	v_or_b32_e32 v17, 0x800000, v8
	s_mov_b32 s0, 0xfe5163ab
	v_mad_u64_u32 v[8:9], s[0:1], v17, s0, 0
	v_mov_b32_e32 v10, 0
	s_mov_b32 s0, 0x3c439041
	v_mad_u64_u32 v[11:12], s[0:1], v17, s0, v[9:10]
	s_mov_b32 s0, 0xdb629599
	v_add_u32_e32 v2, 0xffffff88, v2
	v_mov_b32_e32 v9, v12
	v_mad_u64_u32 v[12:13], s[0:1], v17, s0, v[9:10]
	s_mov_b32 s0, 0xf534ddc0
	v_not_b32_e32 v16, 63
	v_mov_b32_e32 v9, v13
	v_mad_u64_u32 v[13:14], s[0:1], v17, s0, v[9:10]
	s_mov_b32 s0, 0xfc2757d1
	v_cmp_lt_u32_e32 vcc, 63, v2
	v_mov_b32_e32 v9, v14
	v_mad_u64_u32 v[14:15], s[0:1], v17, s0, v[9:10]
	v_cndmask_b32_e32 v9, 0, v16, vcc
	v_add_u32_e32 v2, v9, v2
	v_mov_b32_e32 v9, v15
	s_mov_b32 s0, 0x4e441529
	v_mad_u64_u32 v[15:16], s[0:1], v17, s0, v[9:10]
	v_not_b32_e32 v18, 31
	v_cmp_lt_u32_e64 s[0:1], 31, v2
	v_cndmask_b32_e64 v9, 0, v18, s[0:1]
	v_add_u32_e32 v2, v9, v2
	v_mov_b32_e32 v9, v16
	s_mov_b32 s2, 0xa2f9836e
	v_mad_u64_u32 v[9:10], s[2:3], v17, s2, v[9:10]
	v_cmp_lt_u32_e64 s[2:3], 31, v2
	v_cndmask_b32_e64 v16, 0, v18, s[2:3]
	v_add_u32_e32 v2, v16, v2
	v_cndmask_b32_e32 v16, v15, v13, vcc
	v_cndmask_b32_e32 v9, v9, v14, vcc
	;; [unrolled: 1-line block ×3, first 2 shown]
	v_cndmask_b32_e64 v17, v9, v16, s[0:1]
	v_cndmask_b32_e64 v9, v10, v9, s[0:1]
	v_cndmask_b32_e32 v10, v14, v12, vcc
	v_cndmask_b32_e64 v14, v16, v10, s[0:1]
	v_cndmask_b32_e64 v9, v9, v17, s[2:3]
	;; [unrolled: 1-line block ×3, first 2 shown]
	v_sub_u32_e32 v16, 32, v2
	v_alignbit_b32 v17, v9, v15, v16
	v_cmp_eq_u32_e64 s[4:5], 0, v2
	v_cndmask_b32_e64 v2, v17, v9, s[4:5]
	v_cndmask_b32_e32 v9, v13, v11, vcc
	v_cndmask_b32_e64 v10, v10, v9, s[0:1]
	v_cndmask_b32_e64 v11, v14, v10, s[2:3]
	v_alignbit_b32 v13, v15, v11, v16
	v_cndmask_b32_e32 v8, v12, v8, vcc
	v_cndmask_b32_e64 v13, v13, v15, s[4:5]
	v_bfe_u32 v17, v2, 29, 1
	v_cndmask_b32_e64 v8, v9, v8, s[0:1]
	v_alignbit_b32 v14, v2, v13, 30
	v_sub_u32_e32 v18, 0, v17
	v_cndmask_b32_e64 v8, v10, v8, s[2:3]
	v_xor_b32_e32 v14, v14, v18
	v_alignbit_b32 v9, v11, v8, v16
	v_cndmask_b32_e64 v9, v9, v11, s[4:5]
	v_ffbh_u32_e32 v11, v14
	v_alignbit_b32 v10, v13, v9, 30
	v_min_u32_e32 v11, 32, v11
	v_alignbit_b32 v8, v9, v8, 30
	v_xor_b32_e32 v10, v10, v18
	v_sub_u32_e32 v12, 31, v11
	v_xor_b32_e32 v8, v8, v18
	v_alignbit_b32 v13, v14, v10, v12
	v_alignbit_b32 v8, v10, v8, v12
	;; [unrolled: 1-line block ×3, first 2 shown]
	v_ffbh_u32_e32 v10, v9
	v_min_u32_e32 v10, 32, v10
	v_lshrrev_b32_e32 v15, 29, v2
	v_not_b32_e32 v12, v10
	v_alignbit_b32 v8, v9, v8, v12
	v_lshlrev_b32_e32 v9, 31, v15
	v_or_b32_e32 v12, 0x33000000, v9
	v_add_lshl_u32 v10, v10, v11, 23
	v_lshrrev_b32_e32 v8, 9, v8
	v_sub_u32_e32 v10, v12, v10
	v_or_b32_e32 v9, 0.5, v9
	v_lshlrev_b32_e32 v11, 23, v11
	v_or_b32_e32 v8, v10, v8
	v_lshrrev_b32_e32 v10, 9, v13
	v_sub_u32_e32 v9, v9, v11
	v_or_b32_e32 v9, v10, v9
	s_mov_b32 s0, 0x3fc90fda
	v_mul_f32_e32 v10, 0x3fc90fda, v9
	v_fma_f32 v11, v9, s0, -v10
	v_fmac_f32_e32 v11, 0x33a22168, v9
	v_fmac_f32_e32 v11, 0x3fc90fda, v8
	v_lshrrev_b32_e32 v2, 30, v2
	v_add_f32_e32 v8, v10, v11
	v_add_u32_e32 v9, v17, v2
	s_andn2_saveexec_b64 s[0:1], s[6:7]
	s_cbranch_execnz .LBB25_17
	s_branch .LBB25_18
.LBB25_16:
	s_andn2_saveexec_b64 s[0:1], s[6:7]
	s_cbranch_execz .LBB25_18
.LBB25_17:
	s_mov_b32 s2, 0x3f22f983
	v_mul_f32_e64 v2, |v3|, s2
	v_rndne_f32_e32 v2, v2
	s_mov_b32 s2, 0xbfc90fda
	v_cvt_i32_f32_e32 v9, v2
	v_fma_f32 v8, v2, s2, |v3|
	v_fmac_f32_e32 v8, 0xb3a22168, v2
	v_fmac_f32_e32 v8, 0xa7c234c4, v2
.LBB25_18:
	s_or_b64 exec, exec, s[0:1]
	v_ashrrev_i32_e32 v2, 31, v1
	s_lshr_b32 s0, s17, 31
	v_lshlrev_b64 v[1:2], 1, v[1:2]
	s_add_i32 s0, s17, s0
	s_ashr_i32 s0, s0, 1
	v_mov_b32_e32 v10, s9
	v_add_co_u32_e32 v1, vcc, s8, v1
	s_ashr_i32 s1, s0, 31
	v_addc_co_u32_e32 v2, vcc, v10, v2, vcc
	s_lshl_b64 s[0:1], s[0:1], 1
	global_load_ushort v10, v[1:2], off
	v_mov_b32_e32 v11, s1
	v_add_co_u32_e32 v1, vcc, s0, v1
	v_addc_co_u32_e32 v2, vcc, v2, v11, vcc
	global_load_ushort v2, v[1:2], off
	v_ashrrev_i32_e32 v1, 31, v0
	v_lshlrev_b64 v[0:1], 1, v[0:1]
	v_mov_b32_e32 v17, s11
	v_add_co_u32_e32 v0, vcc, s10, v0
	v_mul_f32_e32 v12, v6, v6
	v_mov_b32_e32 v16, 0xbab64f3b
	v_addc_co_u32_e32 v1, vcc, v17, v1, vcc
	v_mov_b32_e32 v17, 0xbab64f3b
	v_mul_f32_e32 v19, v8, v8
	v_mov_b32_e32 v13, 0x3c0881c4
	v_mov_b32_e32 v14, 0x3c0881c4
	;; [unrolled: 1-line block ×3, first 2 shown]
	v_fmac_f32_e32 v17, 0x37d75334, v12
	v_fmac_f32_e32 v16, 0x37d75334, v19
	v_mov_b32_e32 v15, 0xbe2aaa9d
	v_fmac_f32_e32 v14, 0xb94c1982, v12
	v_fmac_f32_e32 v13, 0xb94c1982, v19
	v_fma_f32 v17, v12, v17, v18
	v_fmac_f32_e32 v18, v19, v16
	v_lshlrev_b32_e32 v16, 30, v9
	v_fma_f32 v14, v12, v14, v15
	v_fmac_f32_e32 v15, v19, v13
	v_mov_b32_e32 v13, 0xbf000004
	v_xor_b32_e32 v5, v5, v3
	v_and_b32_e32 v16, 0x80000000, v16
	v_xor_b32_e32 v5, v5, v16
	v_and_b32_e32 v16, 1, v7
	v_fma_f32 v17, v12, v17, v13
	v_mul_f32_e32 v14, v12, v14
	v_fmac_f32_e32 v13, v19, v18
	v_and_b32_e32 v9, 1, v9
	v_mul_f32_e32 v15, v19, v15
	v_fmac_f32_e32 v6, v6, v14
	v_fma_f32 v12, v12, v17, 1.0
	v_cmp_eq_u32_e32 vcc, 0, v16
	v_fmac_f32_e32 v8, v8, v15
	v_fma_f32 v13, v19, v13, 1.0
	v_cndmask_b32_e64 v6, -v6, v12, vcc
	v_cmp_eq_u32_e32 vcc, 0, v9
	v_lshlrev_b32_e32 v7, 30, v7
	v_cndmask_b32_e32 v8, v13, v8, vcc
	v_and_b32_e32 v7, 0x80000000, v7
	v_xor_b32_e32 v8, v5, v8
	v_add_co_u32_e32 v5, vcc, s0, v0
	s_movk_i32 s1, 0x1f8
	v_xor_b32_e32 v7, v7, v6
	v_addc_co_u32_e32 v6, vcc, v1, v11, vcc
	v_mov_b32_e32 v18, 0x7fc00000
	v_cmp_class_f32_e64 vcc, v3, s1
	v_cndmask_b32_e32 v3, v18, v7, vcc
	v_cndmask_b32_e32 v7, v18, v8, vcc
	v_mul_f32_e32 v3, v4, v3
	v_mul_f32_e64 v4, v7, -v4
	s_waitcnt vmcnt(1)
	v_cvt_f32_f16_e32 v8, v10
	v_mul_f32_e32 v7, v4, v8
	s_waitcnt vmcnt(0)
	v_cvt_f32_f16_e32 v9, v2
	v_fma_mixlo_f16 v2, v3, v2, v7 op_sel_hi:[0,1,0]
	v_mul_f32_e32 v4, v4, v9
	v_fma_mixlo_f16 v3, v3, v10, -v4 op_sel_hi:[0,1,0]
	global_store_short v[0:1], v3, off
	global_store_short v[5:6], v2, off
.LBB25_19:
	s_endpgm
	.section	.rodata,"a",@progbits
	.p2align	6, 0x0
	.amdhsa_kernel _ZL9rope_neoxILb0ELb1E6__halfS0_EvPKT1_PT2_iiiiiiiiiiPKifff14rope_corr_dimsfPKfPKli
		.amdhsa_group_segment_fixed_size 0
		.amdhsa_private_segment_fixed_size 0
		.amdhsa_kernarg_size 368
		.amdhsa_user_sgpr_count 6
		.amdhsa_user_sgpr_private_segment_buffer 1
		.amdhsa_user_sgpr_dispatch_ptr 0
		.amdhsa_user_sgpr_queue_ptr 0
		.amdhsa_user_sgpr_kernarg_segment_ptr 1
		.amdhsa_user_sgpr_dispatch_id 0
		.amdhsa_user_sgpr_flat_scratch_init 0
		.amdhsa_user_sgpr_private_segment_size 0
		.amdhsa_uses_dynamic_stack 0
		.amdhsa_system_sgpr_private_segment_wavefront_offset 0
		.amdhsa_system_sgpr_workgroup_id_x 1
		.amdhsa_system_sgpr_workgroup_id_y 1
		.amdhsa_system_sgpr_workgroup_id_z 0
		.amdhsa_system_sgpr_workgroup_info 0
		.amdhsa_system_vgpr_workitem_id 1
		.amdhsa_next_free_vgpr 20
		.amdhsa_next_free_sgpr 18
		.amdhsa_reserve_vcc 1
		.amdhsa_reserve_flat_scratch 0
		.amdhsa_float_round_mode_32 0
		.amdhsa_float_round_mode_16_64 0
		.amdhsa_float_denorm_mode_32 3
		.amdhsa_float_denorm_mode_16_64 3
		.amdhsa_dx10_clamp 1
		.amdhsa_ieee_mode 1
		.amdhsa_fp16_overflow 0
		.amdhsa_exception_fp_ieee_invalid_op 0
		.amdhsa_exception_fp_denorm_src 0
		.amdhsa_exception_fp_ieee_div_zero 0
		.amdhsa_exception_fp_ieee_overflow 0
		.amdhsa_exception_fp_ieee_underflow 0
		.amdhsa_exception_fp_ieee_inexact 0
		.amdhsa_exception_int_div_zero 0
	.end_amdhsa_kernel
	.section	.text._ZL9rope_neoxILb0ELb1E6__halfS0_EvPKT1_PT2_iiiiiiiiiiPKifff14rope_corr_dimsfPKfPKli,"axG",@progbits,_ZL9rope_neoxILb0ELb1E6__halfS0_EvPKT1_PT2_iiiiiiiiiiPKifff14rope_corr_dimsfPKfPKli,comdat
.Lfunc_end25:
	.size	_ZL9rope_neoxILb0ELb1E6__halfS0_EvPKT1_PT2_iiiiiiiiiiPKifff14rope_corr_dimsfPKfPKli, .Lfunc_end25-_ZL9rope_neoxILb0ELb1E6__halfS0_EvPKT1_PT2_iiiiiiiiiiPKifff14rope_corr_dimsfPKfPKli
                                        ; -- End function
	.set _ZL9rope_neoxILb0ELb1E6__halfS0_EvPKT1_PT2_iiiiiiiiiiPKifff14rope_corr_dimsfPKfPKli.num_vgpr, 20
	.set _ZL9rope_neoxILb0ELb1E6__halfS0_EvPKT1_PT2_iiiiiiiiiiPKifff14rope_corr_dimsfPKfPKli.num_agpr, 0
	.set _ZL9rope_neoxILb0ELb1E6__halfS0_EvPKT1_PT2_iiiiiiiiiiPKifff14rope_corr_dimsfPKfPKli.numbered_sgpr, 18
	.set _ZL9rope_neoxILb0ELb1E6__halfS0_EvPKT1_PT2_iiiiiiiiiiPKifff14rope_corr_dimsfPKfPKli.num_named_barrier, 0
	.set _ZL9rope_neoxILb0ELb1E6__halfS0_EvPKT1_PT2_iiiiiiiiiiPKifff14rope_corr_dimsfPKfPKli.private_seg_size, 0
	.set _ZL9rope_neoxILb0ELb1E6__halfS0_EvPKT1_PT2_iiiiiiiiiiPKifff14rope_corr_dimsfPKfPKli.uses_vcc, 1
	.set _ZL9rope_neoxILb0ELb1E6__halfS0_EvPKT1_PT2_iiiiiiiiiiPKifff14rope_corr_dimsfPKfPKli.uses_flat_scratch, 0
	.set _ZL9rope_neoxILb0ELb1E6__halfS0_EvPKT1_PT2_iiiiiiiiiiPKifff14rope_corr_dimsfPKfPKli.has_dyn_sized_stack, 0
	.set _ZL9rope_neoxILb0ELb1E6__halfS0_EvPKT1_PT2_iiiiiiiiiiPKifff14rope_corr_dimsfPKfPKli.has_recursion, 0
	.set _ZL9rope_neoxILb0ELb1E6__halfS0_EvPKT1_PT2_iiiiiiiiiiPKifff14rope_corr_dimsfPKfPKli.has_indirect_call, 0
	.section	.AMDGPU.csdata,"",@progbits
; Kernel info:
; codeLenInByte = 3908
; TotalNumSgprs: 22
; NumVgprs: 20
; ScratchSize: 0
; MemoryBound: 0
; FloatMode: 240
; IeeeMode: 1
; LDSByteSize: 0 bytes/workgroup (compile time only)
; SGPRBlocks: 2
; VGPRBlocks: 4
; NumSGPRsForWavesPerEU: 22
; NumVGPRsForWavesPerEU: 20
; Occupancy: 10
; WaveLimiterHint : 0
; COMPUTE_PGM_RSRC2:SCRATCH_EN: 0
; COMPUTE_PGM_RSRC2:USER_SGPR: 6
; COMPUTE_PGM_RSRC2:TRAP_HANDLER: 0
; COMPUTE_PGM_RSRC2:TGID_X_EN: 1
; COMPUTE_PGM_RSRC2:TGID_Y_EN: 1
; COMPUTE_PGM_RSRC2:TGID_Z_EN: 0
; COMPUTE_PGM_RSRC2:TIDIG_COMP_CNT: 1
	.section	.text._ZL10rope_multiILb0ELb0EfEvPKT1_PS0_iiiiiiiiiiPKifff14rope_corr_dimsfPKf14mrope_sectionsb,"axG",@progbits,_ZL10rope_multiILb0ELb0EfEvPKT1_PS0_iiiiiiiiiiPKifff14rope_corr_dimsfPKf14mrope_sectionsb,comdat
	.globl	_ZL10rope_multiILb0ELb0EfEvPKT1_PS0_iiiiiiiiiiPKifff14rope_corr_dimsfPKf14mrope_sectionsb ; -- Begin function _ZL10rope_multiILb0ELb0EfEvPKT1_PS0_iiiiiiiiiiPKifff14rope_corr_dimsfPKf14mrope_sectionsb
	.p2align	8
	.type	_ZL10rope_multiILb0ELb0EfEvPKT1_PS0_iiiiiiiiiiPKifff14rope_corr_dimsfPKf14mrope_sectionsb,@function
_ZL10rope_multiILb0ELb0EfEvPKT1_PS0_iiiiiiiiiiPKifff14rope_corr_dimsfPKf14mrope_sectionsb: ; @_ZL10rope_multiILb0ELb0EfEvPKT1_PS0_iiiiiiiiiiPKifff14rope_corr_dimsfPKf14mrope_sectionsb
; %bb.0:
	s_load_dword s2, s[4:5], 0x84
	s_load_dwordx8 s[8:15], s[4:5], 0x10
	s_add_u32 s0, s4, 0x78
	s_addc_u32 s1, s5, 0
	s_waitcnt lgkmcnt(0)
	s_lshr_b32 s2, s2, 16
	s_mul_i32 s7, s7, s2
	v_add_lshl_u32 v5, s7, v1, 1
	v_cmp_gt_i32_e32 vcc, s8, v5
	s_and_saveexec_b64 s[2:3], vcc
	s_cbranch_execz .LBB26_44
; %bb.1:
	s_mul_i32 s2, s10, s9
	s_abs_i32 s3, s2
	v_cvt_f32_u32_e32 v1, s3
	s_load_dword s0, s[0:1], 0xc
	s_sub_i32 s1, 0, s3
	v_cvt_f32_u32_e32 v2, s9
	v_rcp_iflag_f32_e32 v1, v1
	s_waitcnt lgkmcnt(0)
	s_and_b32 s0, s0, 0xffff
	s_mul_i32 s6, s6, s0
	v_mul_f32_e32 v1, 0x4f7ffffe, v1
	v_cvt_u32_f32_e32 v1, v1
	v_add_u32_e32 v0, s6, v0
	v_sub_u32_e32 v4, 0, v0
	v_max_i32_e32 v4, v0, v4
	v_mul_lo_u32 v3, s1, v1
	v_rcp_iflag_f32_e32 v2, v2
	s_sub_i32 s0, 0, s9
	v_xor_b32_e32 v6, s2, v0
	v_mul_hi_u32 v3, v1, v3
	v_mul_f32_e32 v2, 0x4f7ffffe, v2
	v_cvt_u32_f32_e32 v2, v2
	v_ashrrev_i32_e32 v6, 31, v6
	v_add_u32_e32 v1, v1, v3
	v_mul_hi_u32 v1, v4, v1
	v_mul_lo_u32 v3, s0, v2
	s_load_dwordx2 s[6:7], s[4:5], 0x30
	s_load_dwordx4 s[16:19], s[4:5], 0x0
	v_mul_lo_u32 v7, v1, s3
	v_add_u32_e32 v8, 1, v1
	v_mul_hi_u32 v3, v2, v3
	v_sub_u32_e32 v4, v4, v7
	v_cmp_le_u32_e32 vcc, s3, v4
	v_subrev_u32_e32 v7, s3, v4
	v_cndmask_b32_e32 v1, v1, v8, vcc
	v_cndmask_b32_e32 v4, v4, v7, vcc
	v_add_u32_e32 v7, 1, v1
	v_cmp_le_u32_e32 vcc, s3, v4
	v_cndmask_b32_e32 v1, v1, v7, vcc
	v_xor_b32_e32 v1, v1, v6
	v_sub_u32_e32 v4, v1, v6
	v_mul_lo_u32 v1, s2, v4
	v_add_u32_e32 v2, v2, v3
	v_sub_u32_e32 v6, v0, v1
	v_mul_hi_u32 v0, v6, v2
	v_ashrrev_i32_e32 v2, 1, v5
	v_mul_lo_u32 v1, v0, s9
	v_add_u32_e32 v3, 1, v0
	v_sub_u32_e32 v1, v6, v1
	v_cmp_le_u32_e32 vcc, s9, v1
	v_cndmask_b32_e32 v0, v0, v3, vcc
	v_subrev_u32_e32 v3, s9, v1
	v_cndmask_b32_e32 v1, v1, v3, vcc
	v_add_u32_e32 v3, 1, v0
	v_cmp_le_u32_e32 vcc, s9, v1
	v_cndmask_b32_e32 v3, v0, v3, vcc
	v_mul_lo_u32 v7, v3, s9
	s_waitcnt lgkmcnt(0)
	v_mad_u64_u32 v[0:1], s[0:1], v4, s6, v[2:3]
	v_mul_lo_u32 v1, v3, s15
	v_sub_u32_e32 v6, v6, v7
	v_mul_lo_u32 v8, v6, s14
	v_mul_lo_u32 v9, v6, s11
	v_mul_lo_u32 v10, v3, s12
	v_mad_u64_u32 v[6:7], s[0:1], v4, s13, v[2:3]
	v_add3_u32 v0, v0, v1, v8
	v_cmp_le_i32_e32 vcc, s7, v5
	v_add3_u32 v1, v6, v10, v9
	s_and_saveexec_b64 s[0:1], vcc
	s_xor_b64 s[0:1], exec, s[0:1]
	s_cbranch_execz .LBB26_3
; %bb.2:
	v_add_u32_e32 v3, v1, v2
	v_ashrrev_i32_e32 v4, 31, v3
	v_lshlrev_b64 v[3:4], 2, v[3:4]
	v_mov_b32_e32 v1, s17
	v_add_co_u32_e32 v3, vcc, s16, v3
	v_addc_co_u32_e32 v4, vcc, v1, v4, vcc
	global_load_dword v5, v[3:4], off
	v_add_u32_e32 v0, v0, v2
	v_ashrrev_i32_e32 v1, 31, v0
	v_lshlrev_b64 v[0:1], 2, v[0:1]
	v_mov_b32_e32 v2, s19
	v_add_co_u32_e32 v0, vcc, s18, v0
	v_addc_co_u32_e32 v1, vcc, v2, v1, vcc
	s_waitcnt vmcnt(0)
	global_store_dword v[0:1], v5, off
	global_load_dword v2, v[3:4], off offset:4
                                        ; implicit-def: $vgpr3
                                        ; implicit-def: $vgpr5
	s_waitcnt vmcnt(0)
	global_store_dword v[0:1], v2, off offset:4
                                        ; implicit-def: $vgpr1
                                        ; implicit-def: $vgpr0
                                        ; implicit-def: $vgpr2
.LBB26_3:
	s_andn2_saveexec_b64 s[0:1], s[0:1]
	s_cbranch_execz .LBB26_44
; %bb.4:
	s_load_dwordx4 s[20:23], s[4:5], 0x60
	s_load_dwordx2 s[8:9], s[4:5], 0x50
	v_sub_u32_e32 v7, 0, v2
	v_max_i32_e32 v7, v2, v7
	s_waitcnt lgkmcnt(0)
	s_add_i32 s1, s21, s20
	s_add_i32 s0, s1, s22
	;; [unrolled: 1-line block ×3, first 2 shown]
	s_abs_i32 s2, s2
	v_cvt_f32_u32_e32 v4, s2
	s_sub_i32 s3, 0, s2
	v_rcp_iflag_f32_e32 v4, v4
	v_mul_f32_e32 v4, 0x4f7ffffe, v4
	v_cvt_u32_f32_e32 v4, v4
	v_mul_lo_u32 v6, s3, v4
	s_load_dword s3, s[4:5], 0x70
	s_load_dwordx2 s[24:25], s[4:5], 0x38
	s_load_dwordx4 s[12:15], s[4:5], 0x40
	s_waitcnt lgkmcnt(0)
	s_and_b32 s3, s3, 1
	v_mul_hi_u32 v6, v4, v6
	s_cmp_eq_u32 s3, 0
	v_add_u32_e32 v4, v4, v6
	v_mul_hi_u32 v4, v7, v4
	v_ashrrev_i32_e32 v6, 31, v2
	v_mul_lo_u32 v4, v4, s2
	v_sub_u32_e32 v4, v7, v4
	v_subrev_u32_e32 v7, s2, v4
	v_cmp_le_u32_e32 vcc, s2, v4
	v_cndmask_b32_e32 v4, v4, v7, vcc
	v_subrev_u32_e32 v7, s2, v4
	v_cmp_le_u32_e32 vcc, s2, v4
	v_cndmask_b32_e32 v4, v4, v7, vcc
	v_xor_b32_e32 v4, v4, v6
	v_sub_u32_e32 v6, v4, v6
	s_cbranch_scc0 .LBB26_20
; %bb.5:
	v_cmp_le_i32_e32 vcc, s20, v6
                                        ; implicit-def: $vgpr7
	s_and_saveexec_b64 s[2:3], vcc
	s_xor_b64 s[26:27], exec, s[2:3]
	s_cbranch_execz .LBB26_15
; %bb.6:
	v_cmp_le_i32_e32 vcc, s1, v6
                                        ; implicit-def: $vgpr7
	s_and_saveexec_b64 s[2:3], vcc
	s_xor_b64 s[28:29], exec, s[2:3]
	s_cbranch_execz .LBB26_12
; %bb.7:
	v_cvt_f32_i32_e32 v4, v5
	v_cmp_le_i32_e32 vcc, s0, v6
	v_cmp_neq_f32_e64 s[0:1], s9, 1.0
	v_mov_b32_e32 v8, s9
	v_mul_f32_e32 v4, 0.5, v4
	v_cndmask_b32_e64 v7, 1.0, v4, s[0:1]
	v_cmp_neq_f32_e64 s[0:1], 0, v7
	v_cndmask_b32_e64 v4, 1.0, v8, s[0:1]
	v_frexp_mant_f32_e64 v8, |v4|
	s_mov_b32 s0, 0x3f2aaaab
	v_cmp_gt_f32_e64 s[0:1], s0, v8
	v_cndmask_b32_e64 v9, 1.0, 2.0, s[0:1]
	v_mul_f32_e32 v8, v8, v9
	v_add_f32_e32 v9, 1.0, v8
	v_rcp_f32_e32 v10, v9
	v_add_f32_e32 v11, -1.0, v8
	v_add_f32_e32 v12, -1.0, v9
	v_sub_f32_e32 v8, v8, v12
	v_mul_f32_e32 v12, v11, v10
	v_mul_f32_e32 v13, v9, v12
	v_fma_f32 v9, v12, v9, -v13
	v_fmac_f32_e32 v9, v12, v8
	v_add_f32_e32 v8, v13, v9
	v_sub_f32_e32 v14, v11, v8
	v_sub_f32_e32 v13, v8, v13
	;; [unrolled: 1-line block ×5, first 2 shown]
	v_add_f32_e32 v8, v9, v8
	v_add_f32_e32 v8, v14, v8
	v_mul_f32_e32 v8, v10, v8
	v_add_f32_e32 v10, v12, v8
	v_sub_f32_e32 v9, v10, v12
	v_sub_f32_e32 v11, v8, v9
	v_mul_f32_e32 v8, v10, v10
	v_fma_f32 v9, v10, v10, -v8
	v_add_f32_e32 v12, v11, v11
	v_fmac_f32_e32 v9, v10, v12
	v_add_f32_e32 v12, v8, v9
	v_mov_b32_e32 v13, 0x3e91f4c4
	v_sub_f32_e32 v8, v12, v8
	v_fmac_f32_e32 v13, 0x3e76c4e1, v12
	v_mov_b32_e32 v14, 0x3ecccdef
	v_sub_f32_e32 v8, v9, v8
	v_mul_f32_e32 v9, v10, v12
	v_fmac_f32_e32 v14, v12, v13
	v_fma_f32 v13, v12, v10, -v9
	v_fmac_f32_e32 v13, v12, v11
	v_fmac_f32_e32 v13, v8, v10
	v_add_f32_e32 v15, v9, v13
	v_sub_f32_e32 v9, v15, v9
	v_sub_f32_e32 v13, v13, v9
	v_mul_f32_e32 v9, v12, v14
	v_fma_f32 v12, v12, v14, -v9
	v_fmac_f32_e32 v12, v8, v14
	v_add_f32_e32 v14, v9, v12
	v_sub_f32_e32 v8, v14, v9
	v_sub_f32_e32 v12, v12, v8
	v_cvt_f64_f32_e64 v[8:9], |v4|
	v_add_f32_e32 v16, 0x3f2aaaaa, v14
	v_add_f32_e32 v17, 0xbf2aaaaa, v16
	;; [unrolled: 1-line block ×3, first 2 shown]
	v_frexp_exp_i32_f64_e32 v8, v[8:9]
	v_sub_f32_e32 v14, v14, v17
	v_add_f32_e32 v9, v12, v14
	v_add_f32_e32 v12, v16, v9
	v_sub_f32_e32 v14, v16, v12
	v_add_f32_e32 v9, v9, v14
	v_mul_f32_e32 v14, v15, v12
	v_fma_f32 v16, v15, v12, -v14
	v_subbrev_co_u32_e64 v8, s[0:1], 0, v8, s[0:1]
	v_cvt_f32_i32_e32 v8, v8
	v_fmac_f32_e32 v16, v15, v9
	s_mov_b32 s0, 0x3f317218
	v_fmac_f32_e32 v16, v13, v12
	v_mul_f32_e32 v9, 0x3f317218, v8
	v_fma_f32 v12, v8, s0, -v9
	v_fmac_f32_e32 v12, 0xb102e308, v8
	v_ldexp_f32 v8, v11, 1
	v_add_f32_e32 v11, v9, v12
	v_sub_f32_e32 v9, v11, v9
	v_ldexp_f32 v10, v10, 1
	v_sub_f32_e32 v9, v12, v9
	v_add_f32_e32 v12, v14, v16
	v_sub_f32_e32 v13, v12, v14
	v_add_f32_e32 v14, v10, v12
	v_sub_f32_e32 v13, v16, v13
	v_sub_f32_e32 v10, v14, v10
	;; [unrolled: 1-line block ×3, first 2 shown]
	v_add_f32_e32 v8, v8, v13
	v_add_f32_e32 v8, v8, v10
	;; [unrolled: 1-line block ×3, first 2 shown]
	v_sub_f32_e32 v12, v10, v14
	v_sub_f32_e32 v8, v8, v12
	v_add_f32_e32 v12, v11, v10
	v_sub_f32_e32 v13, v12, v11
	v_sub_f32_e32 v14, v12, v13
	;; [unrolled: 1-line block ×4, first 2 shown]
	v_add_f32_e32 v10, v10, v11
	v_add_f32_e32 v11, v9, v8
	v_sub_f32_e32 v13, v11, v9
	v_sub_f32_e32 v14, v11, v13
	;; [unrolled: 1-line block ×4, first 2 shown]
	v_add_f32_e32 v8, v8, v9
	v_add_f32_e32 v9, v11, v10
	;; [unrolled: 1-line block ×3, first 2 shown]
	v_sub_f32_e32 v11, v10, v12
	v_sub_f32_e32 v9, v9, v11
	v_add_f32_e32 v8, v8, v9
	v_add_f32_e32 v9, v10, v8
	v_sub_f32_e32 v10, v9, v10
	v_sub_f32_e32 v8, v8, v10
	v_mul_f32_e32 v10, v7, v9
	v_fma_f32 v9, v7, v9, -v10
	v_fmac_f32_e32 v9, v7, v8
	s_movk_i32 s6, 0x204
	v_add_f32_e32 v8, v10, v9
	v_cmp_class_f32_e64 s[0:1], v10, s6
	v_sub_f32_e32 v11, v8, v10
	v_cndmask_b32_e64 v8, v8, v10, s[0:1]
	s_mov_b32 s3, 0x42b17218
	v_mov_b32_e32 v10, 0x37000000
	v_cmp_eq_f32_e64 s[0:1], s3, v8
	v_cndmask_b32_e64 v10, 0, v10, s[0:1]
	v_sub_f32_e32 v9, v9, v11
	v_sub_f32_e32 v11, v8, v10
	s_mov_b32 s0, 0x3fb8aa3b
	v_mul_f32_e32 v12, 0x3fb8aa3b, v11
	v_fma_f32 v13, v11, s0, -v12
	v_rndne_f32_e32 v14, v12
	v_fmac_f32_e32 v13, 0x32a5705f, v11
	v_sub_f32_e32 v12, v12, v14
	v_add_f32_e32 v12, v12, v13
	v_exp_f32_e32 v12, v12
	v_cvt_i32_f32_e32 v13, v14
	s_mov_b32 s2, 0x7f800000
	v_cmp_neq_f32_e64 s[0:1], |v8|, s2
	v_cndmask_b32_e64 v8, 0, v9, s[0:1]
	s_mov_b32 s0, 0xc2ce8ed0
	v_ldexp_f32 v9, v12, v13
	v_cmp_ngt_f32_e64 s[0:1], s0, v11
	v_add_f32_e32 v8, v10, v8
	v_cndmask_b32_e64 v9, 0, v9, s[0:1]
	v_mov_b32_e32 v10, 0x7f800000
	v_cmp_nlt_f32_e64 s[0:1], s3, v11
	v_cndmask_b32_e64 v9, v10, v9, s[0:1]
	v_fma_f32 v8, v9, v8, v9
	v_cmp_class_f32_e64 s[0:1], v9, s6
	v_cndmask_b32_e64 v8, v8, v9, s[0:1]
	v_trunc_f32_e32 v9, v7
	v_cmp_eq_f32_e64 s[0:1], v9, v7
	v_mul_f32_e32 v9, 0.5, v7
	v_trunc_f32_e32 v12, v9
	v_cmp_neq_f32_e64 s[2:3], v12, v9
	s_and_b64 s[2:3], s[0:1], s[2:3]
	v_cndmask_b32_e64 v9, 1.0, v4, s[2:3]
	s_brev_b32 s11, -2
	v_mov_b32_e32 v11, 0x7fc00000
	v_bfi_b32 v8, s11, v8, v9
	v_cndmask_b32_e64 v9, v11, v8, s[0:1]
	v_cmp_gt_f32_e64 s[0:1], 0, v4
	v_cndmask_b32_e64 v8, v8, v9, s[0:1]
	v_cmp_neq_f32_e64 s[0:1], v7, |v7|
	v_cmp_lt_f32_e64 s[4:5], |v4|, 1.0
	s_xor_b64 s[0:1], s[0:1], s[4:5]
	v_cndmask_b32_e64 v9, v10, 0, s[0:1]
	v_cmp_neq_f32_e64 s[0:1], |v4|, 1.0
	v_cndmask_b32_e64 v9, 1.0, v9, s[0:1]
	v_cmp_class_f32_e64 s[0:1], v7, s6
	v_cndmask_b32_e64 v8, v8, v9, s[0:1]
	v_cmp_eq_f32_e64 s[0:1], 0, v4
	v_cmp_gt_f32_e64 s[4:5], 0, v7
	s_xor_b64 s[4:5], s[4:5], s[0:1]
	v_cmp_class_f32_e64 s[30:31], v4, s6
	v_cndmask_b32_e64 v7, v10, 0, s[4:5]
	v_cndmask_b32_e64 v9, 0, v4, s[2:3]
	v_bfi_b32 v7, s11, v7, v9
	s_or_b64 s[0:1], s[0:1], s[30:31]
	v_cndmask_b32_e64 v7, v8, v7, s[0:1]
	v_cmp_o_f32_e64 s[0:1], v4, v4
	v_cndmask_b32_e64 v4, v11, v7, s[0:1]
                                        ; implicit-def: $vgpr7
	s_and_saveexec_b64 s[0:1], vcc
	s_xor_b64 s[0:1], exec, s[0:1]
	s_cbranch_execz .LBB26_9
; %bb.8:
	v_mad_u64_u32 v[7:8], s[2:3], s10, 3, v[3:4]
	v_mov_b32_e32 v8, 0
	v_mov_b32_e32 v9, s25
	v_lshlrev_b64 v[7:8], 2, v[7:8]
	v_add_co_u32_e32 v7, vcc, s24, v7
	v_addc_co_u32_e32 v8, vcc, v9, v8, vcc
	global_load_dword v7, v[7:8], off
	s_waitcnt vmcnt(0)
	v_cvt_f32_i32_e32 v7, v7
	v_mul_f32_e32 v7, v4, v7
                                        ; implicit-def: $vgpr4
.LBB26_9:
	s_andn2_saveexec_b64 s[0:1], s[0:1]
	s_cbranch_execz .LBB26_11
; %bb.10:
	v_lshl_add_u32 v7, s10, 1, v3
	v_mov_b32_e32 v8, 0
	v_lshlrev_b64 v[7:8], 2, v[7:8]
	v_mov_b32_e32 v9, s25
	v_add_co_u32_e32 v7, vcc, s24, v7
	v_addc_co_u32_e32 v8, vcc, v9, v8, vcc
	global_load_dword v7, v[7:8], off
	s_waitcnt vmcnt(0)
	v_cvt_f32_i32_e32 v7, v7
	v_mul_f32_e32 v7, v4, v7
.LBB26_11:
	s_or_b64 exec, exec, s[0:1]
.LBB26_12:
	s_andn2_saveexec_b64 s[4:5], s[28:29]
	s_cbranch_execz .LBB26_14
; %bb.13:
	v_add_u32_e32 v7, s10, v3
	v_mov_b32_e32 v8, 0
	v_lshlrev_b64 v[7:8], 2, v[7:8]
	v_mov_b32_e32 v4, s25
	v_add_co_u32_e32 v7, vcc, s24, v7
	v_addc_co_u32_e32 v8, vcc, v4, v8, vcc
	v_cvt_f32_i32_e32 v4, v5
	v_cmp_neq_f32_e64 vcc, s9, 1.0
	global_load_dword v8, v[7:8], off
	v_mov_b32_e32 v9, s9
	v_mul_f32_e32 v4, 0.5, v4
	v_cndmask_b32_e32 v7, 1.0, v4, vcc
	v_cmp_neq_f32_e32 vcc, 0, v7
	v_cndmask_b32_e32 v4, 1.0, v9, vcc
	s_mov_b32 s0, 0x3f2aaaab
	v_frexp_mant_f32_e64 v13, |v4|
	v_cmp_gt_f32_e32 vcc, s0, v13
	v_cndmask_b32_e64 v14, 1.0, 2.0, vcc
	v_mul_f32_e32 v13, v13, v14
	v_add_f32_e32 v15, 1.0, v13
	v_cvt_f64_f32_e64 v[9:10], |v4|
	v_rcp_f32_e32 v16, v15
	v_add_f32_e32 v14, -1.0, v13
	v_add_f32_e32 v17, -1.0, v15
	v_frexp_exp_i32_f64_e32 v9, v[9:10]
	v_sub_f32_e32 v10, v13, v17
	v_mul_f32_e32 v13, v14, v16
	v_mul_f32_e32 v17, v15, v13
	v_fma_f32 v15, v13, v15, -v17
	v_fmac_f32_e32 v15, v13, v10
	v_add_f32_e32 v10, v17, v15
	v_sub_f32_e32 v18, v14, v10
	v_sub_f32_e32 v17, v10, v17
	;; [unrolled: 1-line block ×5, first 2 shown]
	v_add_f32_e32 v10, v15, v10
	v_add_f32_e32 v10, v18, v10
	v_mul_f32_e32 v10, v16, v10
	v_add_f32_e32 v14, v13, v10
	v_sub_f32_e32 v13, v14, v13
	v_mul_f32_e32 v15, v14, v14
	v_sub_f32_e32 v10, v10, v13
	v_fma_f32 v13, v14, v14, -v15
	v_add_f32_e32 v16, v10, v10
	v_fmac_f32_e32 v13, v14, v16
	v_mov_b32_e32 v11, 0x3e91f4c4
	v_add_f32_e32 v16, v15, v13
	v_mov_b32_e32 v12, 0x3ecccdef
	v_fmac_f32_e32 v11, 0x3e76c4e1, v16
	v_sub_f32_e32 v15, v16, v15
	v_mul_f32_e32 v17, v14, v16
	v_fmac_f32_e32 v12, v16, v11
	v_sub_f32_e32 v11, v13, v15
	v_fma_f32 v13, v16, v14, -v17
	v_fmac_f32_e32 v13, v16, v10
	v_mul_f32_e32 v15, v16, v12
	v_fmac_f32_e32 v13, v11, v14
	v_fma_f32 v16, v16, v12, -v15
	v_add_f32_e32 v18, v17, v13
	v_fmac_f32_e32 v16, v11, v12
	v_sub_f32_e32 v11, v18, v17
	v_add_f32_e32 v12, v15, v16
	v_sub_f32_e32 v11, v13, v11
	v_add_f32_e32 v13, 0x3f2aaaaa, v12
	v_sub_f32_e32 v15, v12, v15
	v_sub_f32_e32 v15, v16, v15
	v_add_f32_e32 v16, 0xbf2aaaaa, v13
	v_add_f32_e32 v15, 0x31739010, v15
	v_sub_f32_e32 v12, v12, v16
	v_subbrev_co_u32_e32 v9, vcc, 0, v9, vcc
	v_add_f32_e32 v12, v15, v12
	v_cvt_f32_i32_e32 v9, v9
	v_add_f32_e32 v15, v13, v12
	v_sub_f32_e32 v13, v13, v15
	v_mul_f32_e32 v16, v18, v15
	v_add_f32_e32 v12, v12, v13
	v_fma_f32 v13, v18, v15, -v16
	v_fmac_f32_e32 v13, v18, v12
	s_mov_b32 s1, 0x3f317218
	v_fmac_f32_e32 v13, v11, v15
	v_mul_f32_e32 v11, 0x3f317218, v9
	v_fma_f32 v12, v9, s1, -v11
	v_fmac_f32_e32 v12, 0xb102e308, v9
	v_ldexp_f32 v9, v10, 1
	v_ldexp_f32 v10, v14, 1
	v_add_f32_e32 v14, v11, v12
	v_sub_f32_e32 v11, v14, v11
	v_sub_f32_e32 v11, v12, v11
	v_add_f32_e32 v12, v16, v13
	v_sub_f32_e32 v15, v12, v16
	v_sub_f32_e32 v13, v13, v15
	;; [unrolled: 3-line block ×3, first 2 shown]
	v_add_f32_e32 v9, v9, v13
	v_add_f32_e32 v9, v9, v10
	;; [unrolled: 1-line block ×3, first 2 shown]
	v_sub_f32_e32 v12, v10, v15
	v_sub_f32_e32 v9, v9, v12
	v_add_f32_e32 v12, v14, v10
	v_sub_f32_e32 v13, v12, v14
	v_sub_f32_e32 v15, v12, v13
	;; [unrolled: 1-line block ×4, first 2 shown]
	v_add_f32_e32 v13, v11, v9
	v_add_f32_e32 v10, v10, v14
	v_sub_f32_e32 v14, v13, v11
	v_sub_f32_e32 v15, v13, v14
	;; [unrolled: 1-line block ×4, first 2 shown]
	v_add_f32_e32 v10, v13, v10
	v_add_f32_e32 v9, v9, v11
	;; [unrolled: 1-line block ×3, first 2 shown]
	v_sub_f32_e32 v12, v11, v12
	v_sub_f32_e32 v10, v10, v12
	v_add_f32_e32 v9, v9, v10
	v_add_f32_e32 v10, v11, v9
	v_sub_f32_e32 v11, v10, v11
	v_sub_f32_e32 v9, v9, v11
	v_mul_f32_e32 v11, v7, v10
	v_fma_f32 v10, v7, v10, -v11
	v_fmac_f32_e32 v10, v7, v9
	s_movk_i32 s6, 0x204
	v_add_f32_e32 v9, v11, v10
	v_cmp_class_f32_e64 vcc, v11, s6
	v_sub_f32_e32 v12, v9, v11
	v_cndmask_b32_e32 v9, v9, v11, vcc
	s_mov_b32 s1, 0x42b17218
	v_mov_b32_e32 v11, 0x37000000
	v_cmp_eq_f32_e32 vcc, s1, v9
	v_cndmask_b32_e32 v11, 0, v11, vcc
	v_sub_f32_e32 v10, v10, v12
	v_sub_f32_e32 v12, v9, v11
	s_mov_b32 s2, 0x3fb8aa3b
	v_mul_f32_e32 v13, 0x3fb8aa3b, v12
	v_fma_f32 v14, v12, s2, -v13
	v_rndne_f32_e32 v15, v13
	v_fmac_f32_e32 v14, 0x32a5705f, v12
	v_sub_f32_e32 v13, v13, v15
	v_add_f32_e32 v13, v13, v14
	v_exp_f32_e32 v13, v13
	v_cvt_i32_f32_e32 v14, v15
	s_mov_b32 s0, 0x7f800000
	v_cmp_neq_f32_e64 vcc, |v9|, s0
	s_mov_b32 s0, 0xc2ce8ed0
	v_cndmask_b32_e32 v9, 0, v10, vcc
	v_ldexp_f32 v10, v13, v14
	v_cmp_ngt_f32_e32 vcc, s0, v12
	v_add_f32_e32 v9, v11, v9
	v_cndmask_b32_e32 v10, 0, v10, vcc
	v_mov_b32_e32 v11, 0x7f800000
	v_cmp_nlt_f32_e32 vcc, s1, v12
	v_cndmask_b32_e32 v10, v11, v10, vcc
	v_fma_f32 v9, v10, v9, v10
	v_cmp_class_f32_e64 vcc, v10, s6
	v_cndmask_b32_e32 v9, v9, v10, vcc
	v_trunc_f32_e32 v10, v7
	v_cmp_eq_f32_e32 vcc, v10, v7
	v_mul_f32_e32 v10, 0.5, v7
	v_trunc_f32_e32 v13, v10
	v_cmp_neq_f32_e64 s[0:1], v13, v10
	s_and_b64 s[0:1], vcc, s[0:1]
	v_cndmask_b32_e64 v10, 1.0, v4, s[0:1]
	s_brev_b32 s11, -2
	v_mov_b32_e32 v12, 0x7fc00000
	v_bfi_b32 v9, s11, v9, v10
	v_cmp_neq_f32_e64 s[2:3], v7, |v7|
	v_cmp_lt_f32_e64 s[28:29], |v4|, 1.0
	v_cndmask_b32_e32 v10, v12, v9, vcc
	v_cmp_gt_f32_e32 vcc, 0, v4
	s_xor_b64 s[2:3], s[2:3], s[28:29]
	v_cndmask_b32_e32 v9, v9, v10, vcc
	v_cndmask_b32_e64 v10, v11, 0, s[2:3]
	v_cmp_neq_f32_e64 vcc, |v4|, 1.0
	v_cndmask_b32_e32 v10, 1.0, v10, vcc
	v_cmp_class_f32_e64 vcc, v7, s6
	v_cndmask_b32_e32 v9, v9, v10, vcc
	v_cmp_eq_f32_e32 vcc, 0, v4
	v_cmp_gt_f32_e64 s[2:3], 0, v7
	s_xor_b64 s[2:3], s[2:3], vcc
	s_waitcnt vmcnt(0)
	v_cvt_f32_i32_e32 v8, v8
	v_cmp_class_f32_e64 s[28:29], v4, s6
	v_cndmask_b32_e64 v7, v11, 0, s[2:3]
	v_cndmask_b32_e64 v10, 0, v4, s[0:1]
	v_bfi_b32 v7, s11, v7, v10
	s_or_b64 vcc, vcc, s[28:29]
	v_cndmask_b32_e32 v7, v9, v7, vcc
	v_cmp_o_f32_e32 vcc, v4, v4
	v_cndmask_b32_e32 v4, v12, v7, vcc
	v_mul_f32_e32 v7, v4, v8
.LBB26_14:
	s_or_b64 exec, exec, s[4:5]
.LBB26_15:
	s_andn2_saveexec_b64 s[4:5], s[26:27]
	s_cbranch_execz .LBB26_17
; %bb.16:
	v_mov_b32_e32 v4, 0
	v_lshlrev_b64 v[7:8], 2, v[3:4]
	v_mov_b32_e32 v4, s25
	v_add_co_u32_e32 v7, vcc, s24, v7
	v_addc_co_u32_e32 v8, vcc, v4, v8, vcc
	v_cvt_f32_i32_e32 v4, v5
	v_cmp_neq_f32_e64 vcc, s9, 1.0
	global_load_dword v8, v[7:8], off
	v_mov_b32_e32 v9, s9
	v_mul_f32_e32 v4, 0.5, v4
	v_cndmask_b32_e32 v7, 1.0, v4, vcc
	v_cmp_neq_f32_e32 vcc, 0, v7
	v_cndmask_b32_e32 v4, 1.0, v9, vcc
	s_mov_b32 s0, 0x3f2aaaab
	v_frexp_mant_f32_e64 v13, |v4|
	v_cmp_gt_f32_e32 vcc, s0, v13
	v_cndmask_b32_e64 v14, 1.0, 2.0, vcc
	v_mul_f32_e32 v13, v13, v14
	v_add_f32_e32 v15, 1.0, v13
	v_cvt_f64_f32_e64 v[9:10], |v4|
	v_rcp_f32_e32 v16, v15
	v_add_f32_e32 v14, -1.0, v13
	v_add_f32_e32 v17, -1.0, v15
	v_frexp_exp_i32_f64_e32 v9, v[9:10]
	v_sub_f32_e32 v10, v13, v17
	v_mul_f32_e32 v13, v14, v16
	v_mul_f32_e32 v17, v15, v13
	v_fma_f32 v15, v13, v15, -v17
	v_fmac_f32_e32 v15, v13, v10
	v_add_f32_e32 v10, v17, v15
	v_sub_f32_e32 v18, v14, v10
	v_sub_f32_e32 v17, v10, v17
	;; [unrolled: 1-line block ×5, first 2 shown]
	v_add_f32_e32 v10, v15, v10
	v_add_f32_e32 v10, v18, v10
	v_mul_f32_e32 v10, v16, v10
	v_add_f32_e32 v15, v13, v10
	v_sub_f32_e32 v13, v15, v13
	v_mul_f32_e32 v16, v15, v15
	v_sub_f32_e32 v10, v10, v13
	v_fma_f32 v13, v15, v15, -v16
	v_add_f32_e32 v17, v10, v10
	v_fmac_f32_e32 v13, v15, v17
	v_mov_b32_e32 v11, 0x3e91f4c4
	v_add_f32_e32 v17, v16, v13
	v_mov_b32_e32 v12, 0x3ecccdef
	v_fmac_f32_e32 v11, 0x3e76c4e1, v17
	v_sub_f32_e32 v16, v17, v16
	v_mul_f32_e32 v18, v15, v17
	v_fmac_f32_e32 v12, v17, v11
	v_sub_f32_e32 v11, v13, v16
	v_fma_f32 v13, v17, v15, -v18
	v_fmac_f32_e32 v13, v17, v10
	v_mul_f32_e32 v16, v17, v12
	v_fmac_f32_e32 v13, v11, v15
	v_fma_f32 v17, v17, v12, -v16
	v_add_f32_e32 v19, v18, v13
	v_fmac_f32_e32 v17, v11, v12
	v_sub_f32_e32 v11, v19, v18
	v_add_f32_e32 v12, v16, v17
	v_sub_f32_e32 v11, v13, v11
	v_add_f32_e32 v13, 0x3f2aaaaa, v12
	v_sub_f32_e32 v16, v12, v16
	v_sub_f32_e32 v16, v17, v16
	v_add_f32_e32 v17, 0xbf2aaaaa, v13
	v_subbrev_co_u32_e32 v9, vcc, 0, v9, vcc
	v_add_f32_e32 v16, 0x31739010, v16
	v_sub_f32_e32 v12, v12, v17
	v_cvt_f32_i32_e32 v9, v9
	v_add_f32_e32 v12, v16, v12
	v_add_f32_e32 v16, v13, v12
	v_sub_f32_e32 v13, v13, v16
	v_mul_f32_e32 v17, v19, v16
	v_add_f32_e32 v12, v12, v13
	v_fma_f32 v13, v19, v16, -v17
	s_mov_b32 s1, 0x3f317218
	v_mul_f32_e32 v14, 0x3f317218, v9
	v_fmac_f32_e32 v13, v19, v12
	v_fmac_f32_e32 v13, v11, v16
	v_fma_f32 v11, v9, s1, -v14
	v_fmac_f32_e32 v11, 0xb102e308, v9
	v_add_f32_e32 v12, v14, v11
	v_sub_f32_e32 v14, v12, v14
	v_sub_f32_e32 v11, v11, v14
	v_add_f32_e32 v14, v17, v13
	v_ldexp_f32 v9, v10, 1
	v_ldexp_f32 v10, v15, 1
	v_sub_f32_e32 v15, v14, v17
	v_sub_f32_e32 v13, v13, v15
	v_add_f32_e32 v15, v10, v14
	v_sub_f32_e32 v10, v15, v10
	v_sub_f32_e32 v10, v14, v10
	v_add_f32_e32 v9, v9, v13
	v_add_f32_e32 v9, v9, v10
	;; [unrolled: 1-line block ×3, first 2 shown]
	v_sub_f32_e32 v13, v10, v15
	v_sub_f32_e32 v9, v9, v13
	v_add_f32_e32 v13, v12, v10
	v_sub_f32_e32 v14, v13, v12
	v_sub_f32_e32 v15, v13, v14
	;; [unrolled: 1-line block ×4, first 2 shown]
	v_add_f32_e32 v10, v10, v12
	v_add_f32_e32 v12, v11, v9
	v_sub_f32_e32 v14, v12, v11
	v_sub_f32_e32 v15, v12, v14
	;; [unrolled: 1-line block ×4, first 2 shown]
	v_add_f32_e32 v10, v12, v10
	v_add_f32_e32 v9, v9, v11
	v_add_f32_e32 v11, v13, v10
	v_sub_f32_e32 v12, v11, v13
	v_sub_f32_e32 v10, v10, v12
	v_add_f32_e32 v9, v9, v10
	v_add_f32_e32 v10, v11, v9
	v_sub_f32_e32 v11, v10, v11
	v_sub_f32_e32 v9, v9, v11
	v_mul_f32_e32 v11, v7, v10
	v_fma_f32 v10, v7, v10, -v11
	v_fmac_f32_e32 v10, v7, v9
	s_movk_i32 s6, 0x204
	v_add_f32_e32 v9, v11, v10
	v_cmp_class_f32_e64 vcc, v11, s6
	v_sub_f32_e32 v12, v9, v11
	v_cndmask_b32_e32 v9, v9, v11, vcc
	s_mov_b32 s1, 0x42b17218
	v_mov_b32_e32 v11, 0x37000000
	v_cmp_eq_f32_e32 vcc, s1, v9
	v_cndmask_b32_e32 v11, 0, v11, vcc
	v_sub_f32_e32 v10, v10, v12
	v_sub_f32_e32 v12, v9, v11
	s_mov_b32 s2, 0x3fb8aa3b
	v_mul_f32_e32 v13, 0x3fb8aa3b, v12
	v_fma_f32 v14, v12, s2, -v13
	v_rndne_f32_e32 v15, v13
	v_fmac_f32_e32 v14, 0x32a5705f, v12
	v_sub_f32_e32 v13, v13, v15
	v_add_f32_e32 v13, v13, v14
	v_exp_f32_e32 v13, v13
	v_cvt_i32_f32_e32 v14, v15
	s_mov_b32 s0, 0x7f800000
	v_cmp_neq_f32_e64 vcc, |v9|, s0
	s_mov_b32 s0, 0xc2ce8ed0
	v_cndmask_b32_e32 v9, 0, v10, vcc
	v_ldexp_f32 v10, v13, v14
	v_cmp_ngt_f32_e32 vcc, s0, v12
	v_add_f32_e32 v9, v11, v9
	v_cndmask_b32_e32 v10, 0, v10, vcc
	v_mov_b32_e32 v11, 0x7f800000
	v_cmp_nlt_f32_e32 vcc, s1, v12
	v_cndmask_b32_e32 v10, v11, v10, vcc
	v_fma_f32 v9, v10, v9, v10
	v_cmp_class_f32_e64 vcc, v10, s6
	v_cndmask_b32_e32 v9, v9, v10, vcc
	v_trunc_f32_e32 v10, v7
	v_cmp_eq_f32_e32 vcc, v10, v7
	v_mul_f32_e32 v10, 0.5, v7
	v_trunc_f32_e32 v13, v10
	v_cmp_neq_f32_e64 s[0:1], v13, v10
	s_and_b64 s[0:1], vcc, s[0:1]
	v_cndmask_b32_e64 v10, 1.0, v4, s[0:1]
	s_brev_b32 s11, -2
	v_mov_b32_e32 v12, 0x7fc00000
	v_bfi_b32 v9, s11, v9, v10
	v_cmp_neq_f32_e64 s[2:3], v7, |v7|
	v_cmp_lt_f32_e64 s[26:27], |v4|, 1.0
	v_cndmask_b32_e32 v10, v12, v9, vcc
	v_cmp_gt_f32_e32 vcc, 0, v4
	s_xor_b64 s[2:3], s[2:3], s[26:27]
	v_cndmask_b32_e32 v9, v9, v10, vcc
	v_cndmask_b32_e64 v10, v11, 0, s[2:3]
	v_cmp_neq_f32_e64 vcc, |v4|, 1.0
	v_cndmask_b32_e32 v10, 1.0, v10, vcc
	v_cmp_class_f32_e64 vcc, v7, s6
	v_cndmask_b32_e32 v9, v9, v10, vcc
	v_cmp_eq_f32_e32 vcc, 0, v4
	v_cmp_gt_f32_e64 s[2:3], 0, v7
	s_xor_b64 s[2:3], s[2:3], vcc
	s_waitcnt vmcnt(0)
	v_cvt_f32_i32_e32 v8, v8
	v_cmp_class_f32_e64 s[26:27], v4, s6
	v_cndmask_b32_e64 v7, v11, 0, s[2:3]
	v_cndmask_b32_e64 v10, 0, v4, s[0:1]
	v_bfi_b32 v7, s11, v7, v10
	s_or_b64 vcc, vcc, s[26:27]
	v_cndmask_b32_e32 v7, v9, v7, vcc
	v_cmp_o_f32_e32 vcc, v4, v4
	v_cndmask_b32_e32 v4, v12, v7, vcc
	v_mul_f32_e32 v7, v4, v8
.LBB26_17:
	s_or_b64 exec, exec, s[4:5]
	s_cbranch_execz .LBB26_21
; %bb.18:
	v_cmp_eq_f32_e64 s[0:1], s13, 0
	v_mul_f32_e32 v3, s12, v7
	s_and_b64 vcc, exec, s[0:1]
	s_cbranch_vccnz .LBB26_34
.LBB26_19:
	v_cvt_f32_i32_e32 v2, v2
	v_div_scale_f32 v5, s[0:1], s12, s12, 1.0
	v_mov_b32_e32 v4, s15
	v_sub_f32_e32 v4, s8, v4
	v_subrev_f32_e32 v2, s15, v2
	v_max_f32_e32 v4, 0x3a83126f, v4
	v_div_scale_f32 v6, s[0:1], v4, v4, v2
	v_div_scale_f32 v8, s[0:1], 1.0, s12, 1.0
	v_div_scale_f32 v9, vcc, v2, v4, v2
	s_mov_b32 s2, 0x3f317217
	s_mov_b32 s3, 0x7f800000
	v_rcp_f32_e32 v10, v5
	v_fma_f32 v11, -v5, v10, 1.0
	v_fmac_f32_e32 v10, v11, v10
	v_rcp_f32_e32 v12, v6
	v_mul_f32_e32 v11, v8, v10
	v_fma_f32 v13, -v5, v11, v8
	v_fmac_f32_e32 v11, v13, v10
	v_fma_f32 v13, -v6, v12, 1.0
	v_fmac_f32_e32 v12, v13, v12
	v_fma_f32 v5, -v5, v11, v8
	v_mul_f32_e32 v8, v9, v12
	v_fma_f32 v13, -v6, v8, v9
	v_fmac_f32_e32 v8, v13, v12
	v_fma_f32 v6, -v6, v8, v9
	v_div_fmas_f32 v6, v6, v12, v8
	s_mov_b64 vcc, s[0:1]
	v_div_fmas_f32 v5, v5, v10, v11
	s_mov_b32 s0, 0x800000
	v_mov_b32_e32 v8, 0x41b17218
	v_div_fixup_f32 v2, v6, v4, v2 clamp
	v_sub_f32_e32 v2, 1.0, v2
	v_div_fixup_f32 v4, v5, s12, 1.0
	v_cmp_gt_f32_e32 vcc, s0, v4
	s_and_b64 s[0:1], vcc, exec
	s_cselect_b32 s0, 32, 0
	v_ldexp_f32 v4, v4, s0
	v_log_f32_e32 v4, v4
	v_mul_f32_e32 v5, s13, v2
	v_fma_f32 v2, -s13, v2, 1.0
	v_mul_f32_e32 v3, v2, v3
	v_mul_f32_e32 v2, 0x3f317217, v4
	v_fma_f32 v2, v4, s2, -v2
	v_fmac_f32_e32 v2, 0x3377d1cf, v4
	v_cndmask_b32_e32 v6, 0, v8, vcc
	v_fmac_f32_e32 v2, 0x3f317217, v4
	v_cmp_lt_f32_e64 vcc, |v4|, s3
	v_cndmask_b32_e32 v2, v4, v2, vcc
	v_sub_f32_e32 v2, v2, v6
	s_mov_b32 s0, 0x3dcccccd
	v_fma_f32 v2, v2, s0, 1.0
	v_fmac_f32_e32 v3, v5, v7
	v_mul_f32_e32 v4, s14, v2
	s_branch .LBB26_35
.LBB26_20:
                                        ; implicit-def: $vgpr7
.LBB26_21:
	s_mov_b32 s0, 0x55555556
	v_mul_hi_i32 v4, v6, s0
	s_mul_i32 s0, s21, 3
	v_cmp_le_i32_e64 s[0:1], s0, v6
	v_lshrrev_b32_e32 v7, 31, v4
	v_add_u32_e32 v4, v4, v7
	v_lshl_add_u32 v4, v4, 1, v4
	v_sub_u32_e32 v4, v6, v4
	v_cmp_ne_u32_e32 vcc, 1, v4
	s_or_b64 s[0:1], vcc, s[0:1]
                                        ; implicit-def: $vgpr7
	s_and_saveexec_b64 s[2:3], s[0:1]
	s_xor_b64 s[4:5], exec, s[2:3]
	s_cbranch_execz .LBB26_31
; %bb.22:
	s_mul_i32 s0, s22, 3
	v_cmp_ne_u32_e32 vcc, 2, v4
	v_cmp_le_i32_e64 s[0:1], s0, v6
	s_or_b64 s[0:1], vcc, s[0:1]
                                        ; implicit-def: $vgpr7
	s_and_saveexec_b64 s[2:3], s[0:1]
	s_xor_b64 s[22:23], exec, s[2:3]
	s_cbranch_execz .LBB26_28
; %bb.23:
	s_mul_i32 s0, s20, 3
	v_cmp_ne_u32_e32 vcc, 0, v4
	v_cmp_le_i32_e64 s[0:1], s0, v6
	s_or_b64 s[0:1], vcc, s[0:1]
                                        ; implicit-def: $vgpr7
	s_and_saveexec_b64 s[2:3], s[0:1]
	s_xor_b64 s[20:21], exec, s[2:3]
	s_cbranch_execz .LBB26_25
; %bb.24:
	v_mad_u64_u32 v[3:4], s[0:1], s10, 3, v[3:4]
	v_mov_b32_e32 v4, 0
	v_mov_b32_e32 v6, s25
	v_lshlrev_b64 v[3:4], 2, v[3:4]
	s_mov_b32 s0, 0x3f2aaaab
	v_add_co_u32_e32 v3, vcc, s24, v3
	v_addc_co_u32_e32 v4, vcc, v6, v4, vcc
	global_load_dword v6, v[3:4], off
	v_cvt_f32_i32_e32 v3, v5
	v_cmp_neq_f32_e64 vcc, s9, 1.0
	v_mov_b32_e32 v5, s9
	v_mov_b32_e32 v9, 0x3e91f4c4
	v_mul_f32_e32 v3, 0.5, v3
	v_cndmask_b32_e32 v4, 1.0, v3, vcc
	v_cmp_neq_f32_e32 vcc, 0, v4
	v_cndmask_b32_e32 v3, 1.0, v5, vcc
	v_frexp_mant_f32_e64 v5, |v3|
	v_cmp_gt_f32_e32 vcc, s0, v5
	v_cndmask_b32_e64 v11, 1.0, 2.0, vcc
	v_mul_f32_e32 v5, v5, v11
	v_add_f32_e32 v12, 1.0, v5
	v_cvt_f64_f32_e64 v[7:8], |v3|
	v_rcp_f32_e32 v13, v12
	v_add_f32_e32 v11, -1.0, v5
	v_add_f32_e32 v14, -1.0, v12
	v_frexp_exp_i32_f64_e32 v7, v[7:8]
	v_mul_f32_e32 v8, v11, v13
	v_sub_f32_e32 v5, v5, v14
	v_mul_f32_e32 v14, v12, v8
	v_fma_f32 v12, v8, v12, -v14
	v_fmac_f32_e32 v12, v8, v5
	v_add_f32_e32 v5, v14, v12
	v_sub_f32_e32 v15, v11, v5
	v_sub_f32_e32 v14, v5, v14
	;; [unrolled: 1-line block ×5, first 2 shown]
	v_add_f32_e32 v5, v12, v5
	v_add_f32_e32 v5, v15, v5
	v_mul_f32_e32 v5, v13, v5
	v_add_f32_e32 v13, v8, v5
	v_sub_f32_e32 v8, v13, v8
	v_mul_f32_e32 v14, v13, v13
	v_sub_f32_e32 v5, v5, v8
	v_fma_f32 v8, v13, v13, -v14
	v_add_f32_e32 v15, v5, v5
	v_fmac_f32_e32 v8, v13, v15
	v_add_f32_e32 v15, v14, v8
	v_mov_b32_e32 v10, 0x3ecccdef
	v_fmac_f32_e32 v9, 0x3e76c4e1, v15
	v_mul_f32_e32 v16, v13, v15
	v_sub_f32_e32 v14, v15, v14
	v_fmac_f32_e32 v10, v15, v9
	v_fma_f32 v9, v15, v13, -v16
	v_sub_f32_e32 v8, v8, v14
	v_fmac_f32_e32 v9, v15, v5
	v_mul_f32_e32 v14, v15, v10
	v_fmac_f32_e32 v9, v8, v13
	v_fma_f32 v15, v15, v10, -v14
	v_add_f32_e32 v17, v16, v9
	v_fmac_f32_e32 v15, v8, v10
	v_sub_f32_e32 v8, v17, v16
	v_add_f32_e32 v10, v14, v15
	v_subbrev_co_u32_e32 v7, vcc, 0, v7, vcc
	v_sub_f32_e32 v8, v9, v8
	v_add_f32_e32 v9, 0x3f2aaaaa, v10
	v_sub_f32_e32 v14, v10, v14
	v_cvt_f32_i32_e32 v7, v7
	v_sub_f32_e32 v14, v15, v14
	v_add_f32_e32 v15, 0xbf2aaaaa, v9
	v_add_f32_e32 v14, 0x31739010, v14
	v_sub_f32_e32 v10, v10, v15
	v_add_f32_e32 v10, v14, v10
	v_add_f32_e32 v14, v9, v10
	s_mov_b32 s1, 0x3f317218
	v_mul_f32_e32 v11, 0x3f317218, v7
	v_sub_f32_e32 v9, v9, v14
	v_mul_f32_e32 v15, v17, v14
	v_fma_f32 v12, v7, s1, -v11
	v_add_f32_e32 v9, v10, v9
	v_fma_f32 v10, v17, v14, -v15
	v_fmac_f32_e32 v10, v17, v9
	v_fmac_f32_e32 v12, 0xb102e308, v7
	;; [unrolled: 1-line block ×3, first 2 shown]
	v_add_f32_e32 v8, v11, v12
	v_sub_f32_e32 v9, v8, v11
	v_add_f32_e32 v11, v15, v10
	v_ldexp_f32 v7, v13, 1
	v_sub_f32_e32 v9, v12, v9
	v_sub_f32_e32 v12, v11, v15
	;; [unrolled: 1-line block ×3, first 2 shown]
	v_add_f32_e32 v12, v7, v11
	v_ldexp_f32 v5, v5, 1
	v_sub_f32_e32 v7, v12, v7
	v_sub_f32_e32 v7, v11, v7
	v_add_f32_e32 v5, v5, v10
	v_add_f32_e32 v5, v5, v7
	;; [unrolled: 1-line block ×3, first 2 shown]
	v_sub_f32_e32 v10, v7, v12
	v_sub_f32_e32 v5, v5, v10
	v_add_f32_e32 v10, v8, v7
	v_sub_f32_e32 v11, v10, v8
	v_sub_f32_e32 v12, v10, v11
	;; [unrolled: 1-line block ×4, first 2 shown]
	v_add_f32_e32 v7, v7, v8
	v_add_f32_e32 v8, v9, v5
	v_sub_f32_e32 v11, v8, v9
	v_sub_f32_e32 v12, v8, v11
	v_add_f32_e32 v7, v8, v7
	v_sub_f32_e32 v9, v9, v12
	v_sub_f32_e32 v5, v5, v11
	v_add_f32_e32 v8, v10, v7
	v_add_f32_e32 v5, v5, v9
	v_sub_f32_e32 v9, v8, v10
	v_sub_f32_e32 v7, v7, v9
	v_add_f32_e32 v5, v5, v7
	v_add_f32_e32 v7, v8, v5
	v_sub_f32_e32 v8, v7, v8
	v_sub_f32_e32 v5, v5, v8
	v_mul_f32_e32 v8, v4, v7
	v_fma_f32 v7, v4, v7, -v8
	v_fmac_f32_e32 v7, v4, v5
	s_movk_i32 s6, 0x204
	v_add_f32_e32 v5, v8, v7
	v_cmp_class_f32_e64 vcc, v8, s6
	v_sub_f32_e32 v9, v5, v8
	v_cndmask_b32_e32 v5, v5, v8, vcc
	s_mov_b32 s1, 0x42b17218
	v_mov_b32_e32 v8, 0x37000000
	v_cmp_eq_f32_e32 vcc, s1, v5
	v_cndmask_b32_e32 v8, 0, v8, vcc
	v_sub_f32_e32 v7, v7, v9
	v_sub_f32_e32 v9, v5, v8
	s_mov_b32 s2, 0x3fb8aa3b
	v_mul_f32_e32 v10, 0x3fb8aa3b, v9
	v_fma_f32 v11, v9, s2, -v10
	v_rndne_f32_e32 v12, v10
	v_fmac_f32_e32 v11, 0x32a5705f, v9
	v_sub_f32_e32 v10, v10, v12
	v_add_f32_e32 v10, v10, v11
	v_exp_f32_e32 v10, v10
	v_cvt_i32_f32_e32 v11, v12
	s_mov_b32 s0, 0x7f800000
	v_cmp_neq_f32_e64 vcc, |v5|, s0
	s_mov_b32 s0, 0xc2ce8ed0
	v_cndmask_b32_e32 v5, 0, v7, vcc
	v_ldexp_f32 v7, v10, v11
	v_cmp_ngt_f32_e32 vcc, s0, v9
	v_add_f32_e32 v5, v8, v5
	v_cndmask_b32_e32 v7, 0, v7, vcc
	v_mov_b32_e32 v8, 0x7f800000
	v_cmp_nlt_f32_e32 vcc, s1, v9
	v_cndmask_b32_e32 v7, v8, v7, vcc
	v_fma_f32 v5, v7, v5, v7
	v_cmp_class_f32_e64 vcc, v7, s6
	v_cndmask_b32_e32 v5, v5, v7, vcc
	v_trunc_f32_e32 v7, v4
	v_cmp_eq_f32_e32 vcc, v7, v4
	v_mul_f32_e32 v7, 0.5, v4
	v_trunc_f32_e32 v10, v7
	v_cmp_neq_f32_e64 s[0:1], v10, v7
	s_and_b64 s[0:1], vcc, s[0:1]
	v_cndmask_b32_e64 v7, 1.0, v3, s[0:1]
	s_brev_b32 s11, -2
	v_mov_b32_e32 v9, 0x7fc00000
	v_bfi_b32 v5, s11, v5, v7
	v_cmp_neq_f32_e64 s[2:3], v4, |v4|
	v_cmp_lt_f32_e64 s[26:27], |v3|, 1.0
	v_cndmask_b32_e32 v7, v9, v5, vcc
	v_cmp_gt_f32_e32 vcc, 0, v3
	s_xor_b64 s[2:3], s[2:3], s[26:27]
	v_cndmask_b32_e32 v5, v5, v7, vcc
	v_cndmask_b32_e64 v7, v8, 0, s[2:3]
	v_cmp_neq_f32_e64 vcc, |v3|, 1.0
	v_cndmask_b32_e32 v7, 1.0, v7, vcc
	v_cmp_class_f32_e64 vcc, v4, s6
	v_cndmask_b32_e32 v5, v5, v7, vcc
	v_cmp_eq_f32_e32 vcc, 0, v3
	v_cmp_gt_f32_e64 s[2:3], 0, v4
	s_xor_b64 s[2:3], s[2:3], vcc
	s_waitcnt vmcnt(0)
	v_cvt_f32_i32_e32 v6, v6
	v_cmp_class_f32_e64 s[26:27], v3, s6
	v_cndmask_b32_e64 v4, v8, 0, s[2:3]
	v_cndmask_b32_e64 v7, 0, v3, s[0:1]
	v_bfi_b32 v4, s11, v4, v7
	s_or_b64 vcc, vcc, s[26:27]
	v_cndmask_b32_e32 v4, v5, v4, vcc
	v_cmp_o_f32_e32 vcc, v3, v3
	v_cndmask_b32_e32 v3, v9, v4, vcc
	v_mul_f32_e32 v7, v3, v6
                                        ; implicit-def: $vgpr3
                                        ; implicit-def: $vgpr5
.LBB26_25:
	s_andn2_saveexec_b64 s[20:21], s[20:21]
	s_cbranch_execz .LBB26_27
; %bb.26:
	v_mov_b32_e32 v4, 0
	v_lshlrev_b64 v[3:4], 2, v[3:4]
	v_mov_b32_e32 v6, s25
	v_add_co_u32_e32 v3, vcc, s24, v3
	v_addc_co_u32_e32 v4, vcc, v6, v4, vcc
	global_load_dword v6, v[3:4], off
	v_cvt_f32_i32_e32 v3, v5
	v_cmp_neq_f32_e64 vcc, s9, 1.0
	v_mov_b32_e32 v5, s9
	s_mov_b32 s0, 0x3f2aaaab
	v_mul_f32_e32 v3, 0.5, v3
	v_cndmask_b32_e32 v4, 1.0, v3, vcc
	v_cmp_neq_f32_e32 vcc, 0, v4
	v_cndmask_b32_e32 v3, 1.0, v5, vcc
	v_frexp_mant_f32_e64 v5, |v3|
	v_cmp_gt_f32_e32 vcc, s0, v5
	v_cndmask_b32_e64 v11, 1.0, 2.0, vcc
	v_mul_f32_e32 v5, v5, v11
	v_add_f32_e32 v12, 1.0, v5
	v_cvt_f64_f32_e64 v[7:8], |v3|
	v_rcp_f32_e32 v13, v12
	v_add_f32_e32 v11, -1.0, v5
	v_add_f32_e32 v14, -1.0, v12
	v_frexp_exp_i32_f64_e32 v7, v[7:8]
	v_mul_f32_e32 v8, v11, v13
	v_sub_f32_e32 v5, v5, v14
	v_mul_f32_e32 v14, v12, v8
	v_fma_f32 v12, v8, v12, -v14
	v_fmac_f32_e32 v12, v8, v5
	v_add_f32_e32 v5, v14, v12
	v_sub_f32_e32 v15, v11, v5
	v_sub_f32_e32 v14, v5, v14
	;; [unrolled: 1-line block ×5, first 2 shown]
	v_add_f32_e32 v5, v12, v5
	v_add_f32_e32 v5, v15, v5
	v_mul_f32_e32 v5, v13, v5
	v_add_f32_e32 v12, v8, v5
	v_sub_f32_e32 v8, v12, v8
	v_mul_f32_e32 v13, v12, v12
	v_sub_f32_e32 v5, v5, v8
	v_fma_f32 v8, v12, v12, -v13
	v_add_f32_e32 v14, v5, v5
	v_fmac_f32_e32 v8, v12, v14
	v_mov_b32_e32 v9, 0x3e91f4c4
	v_add_f32_e32 v14, v13, v8
	v_mov_b32_e32 v10, 0x3ecccdef
	v_fmac_f32_e32 v9, 0x3e76c4e1, v14
	v_mul_f32_e32 v15, v12, v14
	v_sub_f32_e32 v13, v14, v13
	v_fmac_f32_e32 v10, v14, v9
	v_fma_f32 v9, v14, v12, -v15
	v_sub_f32_e32 v8, v8, v13
	v_fmac_f32_e32 v9, v14, v5
	v_mul_f32_e32 v13, v14, v10
	v_fmac_f32_e32 v9, v8, v12
	v_fma_f32 v14, v14, v10, -v13
	v_add_f32_e32 v16, v15, v9
	v_fmac_f32_e32 v14, v8, v10
	v_sub_f32_e32 v8, v16, v15
	v_add_f32_e32 v10, v13, v14
	v_sub_f32_e32 v8, v9, v8
	v_add_f32_e32 v9, 0x3f2aaaaa, v10
	v_sub_f32_e32 v13, v10, v13
	v_sub_f32_e32 v13, v14, v13
	v_add_f32_e32 v14, 0xbf2aaaaa, v9
	v_subbrev_co_u32_e32 v7, vcc, 0, v7, vcc
	v_add_f32_e32 v13, 0x31739010, v13
	v_sub_f32_e32 v10, v10, v14
	v_cvt_f32_i32_e32 v7, v7
	v_add_f32_e32 v10, v13, v10
	v_add_f32_e32 v13, v9, v10
	v_sub_f32_e32 v9, v9, v13
	v_mul_f32_e32 v14, v16, v13
	v_add_f32_e32 v9, v10, v9
	v_fma_f32 v10, v16, v13, -v14
	s_mov_b32 s1, 0x3f317218
	v_mul_f32_e32 v11, 0x3f317218, v7
	v_fmac_f32_e32 v10, v16, v9
	v_fmac_f32_e32 v10, v8, v13
	v_fma_f32 v8, v7, s1, -v11
	v_fmac_f32_e32 v8, 0xb102e308, v7
	v_add_f32_e32 v9, v11, v8
	v_sub_f32_e32 v11, v9, v11
	v_sub_f32_e32 v8, v8, v11
	v_add_f32_e32 v11, v14, v10
	v_ldexp_f32 v7, v12, 1
	v_sub_f32_e32 v12, v11, v14
	v_sub_f32_e32 v10, v10, v12
	v_add_f32_e32 v12, v7, v11
	v_ldexp_f32 v5, v5, 1
	v_sub_f32_e32 v7, v12, v7
	v_sub_f32_e32 v7, v11, v7
	v_add_f32_e32 v5, v5, v10
	v_add_f32_e32 v5, v5, v7
	;; [unrolled: 1-line block ×3, first 2 shown]
	v_sub_f32_e32 v10, v7, v12
	v_sub_f32_e32 v5, v5, v10
	v_add_f32_e32 v10, v9, v7
	v_sub_f32_e32 v11, v10, v9
	v_sub_f32_e32 v12, v10, v11
	;; [unrolled: 1-line block ×4, first 2 shown]
	v_add_f32_e32 v7, v7, v9
	v_add_f32_e32 v9, v8, v5
	v_sub_f32_e32 v11, v9, v8
	v_sub_f32_e32 v12, v9, v11
	;; [unrolled: 1-line block ×4, first 2 shown]
	v_add_f32_e32 v7, v9, v7
	v_add_f32_e32 v5, v5, v8
	;; [unrolled: 1-line block ×3, first 2 shown]
	v_sub_f32_e32 v9, v8, v10
	v_sub_f32_e32 v7, v7, v9
	v_add_f32_e32 v5, v5, v7
	v_add_f32_e32 v7, v8, v5
	v_sub_f32_e32 v8, v7, v8
	v_sub_f32_e32 v5, v5, v8
	v_mul_f32_e32 v8, v4, v7
	v_fma_f32 v7, v4, v7, -v8
	v_fmac_f32_e32 v7, v4, v5
	s_movk_i32 s6, 0x204
	v_add_f32_e32 v5, v8, v7
	v_cmp_class_f32_e64 vcc, v8, s6
	v_sub_f32_e32 v9, v5, v8
	v_cndmask_b32_e32 v5, v5, v8, vcc
	s_mov_b32 s1, 0x42b17218
	v_mov_b32_e32 v8, 0x37000000
	v_cmp_eq_f32_e32 vcc, s1, v5
	v_cndmask_b32_e32 v8, 0, v8, vcc
	v_sub_f32_e32 v7, v7, v9
	v_sub_f32_e32 v9, v5, v8
	s_mov_b32 s2, 0x3fb8aa3b
	v_mul_f32_e32 v10, 0x3fb8aa3b, v9
	v_fma_f32 v11, v9, s2, -v10
	v_rndne_f32_e32 v12, v10
	v_fmac_f32_e32 v11, 0x32a5705f, v9
	v_sub_f32_e32 v10, v10, v12
	v_add_f32_e32 v10, v10, v11
	v_exp_f32_e32 v10, v10
	v_cvt_i32_f32_e32 v11, v12
	s_mov_b32 s0, 0x7f800000
	v_cmp_neq_f32_e64 vcc, |v5|, s0
	s_mov_b32 s0, 0xc2ce8ed0
	v_cndmask_b32_e32 v5, 0, v7, vcc
	v_ldexp_f32 v7, v10, v11
	v_cmp_ngt_f32_e32 vcc, s0, v9
	v_add_f32_e32 v5, v8, v5
	v_cndmask_b32_e32 v7, 0, v7, vcc
	v_mov_b32_e32 v8, 0x7f800000
	v_cmp_nlt_f32_e32 vcc, s1, v9
	v_cndmask_b32_e32 v7, v8, v7, vcc
	v_fma_f32 v5, v7, v5, v7
	v_cmp_class_f32_e64 vcc, v7, s6
	v_cndmask_b32_e32 v5, v5, v7, vcc
	v_trunc_f32_e32 v7, v4
	v_cmp_eq_f32_e32 vcc, v7, v4
	v_mul_f32_e32 v7, 0.5, v4
	v_trunc_f32_e32 v10, v7
	v_cmp_neq_f32_e64 s[0:1], v10, v7
	s_and_b64 s[0:1], vcc, s[0:1]
	v_cndmask_b32_e64 v7, 1.0, v3, s[0:1]
	s_brev_b32 s11, -2
	v_mov_b32_e32 v9, 0x7fc00000
	v_bfi_b32 v5, s11, v5, v7
	v_cmp_neq_f32_e64 s[2:3], v4, |v4|
	v_cmp_lt_f32_e64 s[26:27], |v3|, 1.0
	v_cndmask_b32_e32 v7, v9, v5, vcc
	v_cmp_gt_f32_e32 vcc, 0, v3
	s_xor_b64 s[2:3], s[2:3], s[26:27]
	v_cndmask_b32_e32 v5, v5, v7, vcc
	v_cndmask_b32_e64 v7, v8, 0, s[2:3]
	v_cmp_neq_f32_e64 vcc, |v3|, 1.0
	v_cndmask_b32_e32 v7, 1.0, v7, vcc
	v_cmp_class_f32_e64 vcc, v4, s6
	v_cndmask_b32_e32 v5, v5, v7, vcc
	v_cmp_eq_f32_e32 vcc, 0, v3
	v_cmp_gt_f32_e64 s[2:3], 0, v4
	s_xor_b64 s[2:3], s[2:3], vcc
	s_waitcnt vmcnt(0)
	v_cvt_f32_i32_e32 v6, v6
	v_cmp_class_f32_e64 s[26:27], v3, s6
	v_cndmask_b32_e64 v4, v8, 0, s[2:3]
	v_cndmask_b32_e64 v7, 0, v3, s[0:1]
	v_bfi_b32 v4, s11, v4, v7
	s_or_b64 vcc, vcc, s[26:27]
	v_cndmask_b32_e32 v4, v5, v4, vcc
	v_cmp_o_f32_e32 vcc, v3, v3
	v_cndmask_b32_e32 v3, v9, v4, vcc
	v_mul_f32_e32 v7, v3, v6
.LBB26_27:
	s_or_b64 exec, exec, s[20:21]
                                        ; implicit-def: $vgpr3
                                        ; implicit-def: $vgpr5
.LBB26_28:
	s_andn2_saveexec_b64 s[20:21], s[22:23]
	s_cbranch_execz .LBB26_30
; %bb.29:
	v_lshl_add_u32 v3, s10, 1, v3
	v_mov_b32_e32 v4, 0
	v_lshlrev_b64 v[3:4], 2, v[3:4]
	v_mov_b32_e32 v6, s25
	v_add_co_u32_e32 v3, vcc, s24, v3
	v_addc_co_u32_e32 v4, vcc, v6, v4, vcc
	global_load_dword v6, v[3:4], off
	v_cvt_f32_i32_e32 v3, v5
	v_cmp_neq_f32_e64 vcc, s9, 1.0
	v_mov_b32_e32 v5, s9
	s_mov_b32 s0, 0x3f2aaaab
	v_mul_f32_e32 v3, 0.5, v3
	v_cndmask_b32_e32 v4, 1.0, v3, vcc
	v_cmp_neq_f32_e32 vcc, 0, v4
	v_cndmask_b32_e32 v3, 1.0, v5, vcc
	v_frexp_mant_f32_e64 v5, |v3|
	v_cmp_gt_f32_e32 vcc, s0, v5
	v_cndmask_b32_e64 v11, 1.0, 2.0, vcc
	v_mul_f32_e32 v5, v5, v11
	v_add_f32_e32 v12, 1.0, v5
	v_cvt_f64_f32_e64 v[7:8], |v3|
	v_rcp_f32_e32 v13, v12
	v_add_f32_e32 v11, -1.0, v5
	v_add_f32_e32 v14, -1.0, v12
	v_frexp_exp_i32_f64_e32 v7, v[7:8]
	v_mul_f32_e32 v8, v11, v13
	v_sub_f32_e32 v5, v5, v14
	v_mul_f32_e32 v14, v12, v8
	v_fma_f32 v12, v8, v12, -v14
	v_fmac_f32_e32 v12, v8, v5
	v_add_f32_e32 v5, v14, v12
	v_sub_f32_e32 v15, v11, v5
	v_sub_f32_e32 v14, v5, v14
	;; [unrolled: 1-line block ×5, first 2 shown]
	v_add_f32_e32 v5, v12, v5
	v_add_f32_e32 v5, v15, v5
	v_mul_f32_e32 v5, v13, v5
	v_add_f32_e32 v11, v8, v5
	v_sub_f32_e32 v8, v11, v8
	v_mul_f32_e32 v12, v11, v11
	v_sub_f32_e32 v5, v5, v8
	v_fma_f32 v8, v11, v11, -v12
	v_add_f32_e32 v13, v5, v5
	v_fmac_f32_e32 v8, v11, v13
	v_mov_b32_e32 v9, 0x3e91f4c4
	v_add_f32_e32 v13, v12, v8
	v_mov_b32_e32 v10, 0x3ecccdef
	v_fmac_f32_e32 v9, 0x3e76c4e1, v13
	v_mul_f32_e32 v14, v11, v13
	v_sub_f32_e32 v12, v13, v12
	v_fmac_f32_e32 v10, v13, v9
	v_fma_f32 v9, v13, v11, -v14
	v_sub_f32_e32 v8, v8, v12
	v_fmac_f32_e32 v9, v13, v5
	v_mul_f32_e32 v12, v13, v10
	v_fmac_f32_e32 v9, v8, v11
	v_fma_f32 v13, v13, v10, -v12
	v_add_f32_e32 v15, v14, v9
	v_fmac_f32_e32 v13, v8, v10
	v_sub_f32_e32 v8, v15, v14
	v_add_f32_e32 v10, v12, v13
	v_sub_f32_e32 v8, v9, v8
	v_add_f32_e32 v9, 0x3f2aaaaa, v10
	v_sub_f32_e32 v12, v10, v12
	v_sub_f32_e32 v12, v13, v12
	v_add_f32_e32 v13, 0xbf2aaaaa, v9
	v_add_f32_e32 v12, 0x31739010, v12
	v_sub_f32_e32 v10, v10, v13
	v_subbrev_co_u32_e32 v7, vcc, 0, v7, vcc
	v_add_f32_e32 v10, v12, v10
	v_cvt_f32_i32_e32 v7, v7
	v_add_f32_e32 v12, v9, v10
	v_sub_f32_e32 v9, v9, v12
	v_mul_f32_e32 v13, v15, v12
	v_add_f32_e32 v9, v10, v9
	v_fma_f32 v10, v15, v12, -v13
	v_fmac_f32_e32 v10, v15, v9
	s_mov_b32 s1, 0x3f317218
	v_fmac_f32_e32 v10, v8, v12
	v_mul_f32_e32 v8, 0x3f317218, v7
	v_fma_f32 v9, v7, s1, -v8
	v_fmac_f32_e32 v9, 0xb102e308, v7
	v_ldexp_f32 v7, v11, 1
	v_add_f32_e32 v11, v8, v9
	v_sub_f32_e32 v8, v11, v8
	v_sub_f32_e32 v8, v9, v8
	v_add_f32_e32 v9, v13, v10
	v_sub_f32_e32 v12, v9, v13
	v_sub_f32_e32 v10, v10, v12
	v_add_f32_e32 v12, v7, v9
	v_ldexp_f32 v5, v5, 1
	v_sub_f32_e32 v7, v12, v7
	v_sub_f32_e32 v7, v9, v7
	v_add_f32_e32 v5, v5, v10
	v_add_f32_e32 v5, v5, v7
	;; [unrolled: 1-line block ×3, first 2 shown]
	v_sub_f32_e32 v9, v7, v12
	v_sub_f32_e32 v5, v5, v9
	v_add_f32_e32 v9, v11, v7
	v_sub_f32_e32 v10, v9, v11
	v_sub_f32_e32 v12, v9, v10
	;; [unrolled: 1-line block ×4, first 2 shown]
	v_add_f32_e32 v10, v8, v5
	v_add_f32_e32 v7, v7, v11
	v_sub_f32_e32 v11, v10, v8
	v_sub_f32_e32 v12, v10, v11
	;; [unrolled: 1-line block ×4, first 2 shown]
	v_add_f32_e32 v7, v10, v7
	v_add_f32_e32 v5, v5, v8
	;; [unrolled: 1-line block ×3, first 2 shown]
	v_sub_f32_e32 v9, v8, v9
	v_sub_f32_e32 v7, v7, v9
	v_add_f32_e32 v5, v5, v7
	v_add_f32_e32 v7, v8, v5
	v_sub_f32_e32 v8, v7, v8
	v_sub_f32_e32 v5, v5, v8
	v_mul_f32_e32 v8, v4, v7
	v_fma_f32 v7, v4, v7, -v8
	v_fmac_f32_e32 v7, v4, v5
	s_movk_i32 s6, 0x204
	v_add_f32_e32 v5, v8, v7
	v_cmp_class_f32_e64 vcc, v8, s6
	v_sub_f32_e32 v9, v5, v8
	v_cndmask_b32_e32 v5, v5, v8, vcc
	s_mov_b32 s1, 0x42b17218
	v_mov_b32_e32 v8, 0x37000000
	v_cmp_eq_f32_e32 vcc, s1, v5
	v_cndmask_b32_e32 v8, 0, v8, vcc
	v_sub_f32_e32 v7, v7, v9
	v_sub_f32_e32 v9, v5, v8
	s_mov_b32 s2, 0x3fb8aa3b
	v_mul_f32_e32 v10, 0x3fb8aa3b, v9
	v_fma_f32 v11, v9, s2, -v10
	v_rndne_f32_e32 v12, v10
	v_fmac_f32_e32 v11, 0x32a5705f, v9
	v_sub_f32_e32 v10, v10, v12
	v_add_f32_e32 v10, v10, v11
	v_exp_f32_e32 v10, v10
	v_cvt_i32_f32_e32 v11, v12
	s_mov_b32 s0, 0x7f800000
	v_cmp_neq_f32_e64 vcc, |v5|, s0
	s_mov_b32 s0, 0xc2ce8ed0
	v_cndmask_b32_e32 v5, 0, v7, vcc
	v_ldexp_f32 v7, v10, v11
	v_cmp_ngt_f32_e32 vcc, s0, v9
	v_add_f32_e32 v5, v8, v5
	v_cndmask_b32_e32 v7, 0, v7, vcc
	v_mov_b32_e32 v8, 0x7f800000
	v_cmp_nlt_f32_e32 vcc, s1, v9
	v_cndmask_b32_e32 v7, v8, v7, vcc
	v_fma_f32 v5, v7, v5, v7
	v_cmp_class_f32_e64 vcc, v7, s6
	v_cndmask_b32_e32 v5, v5, v7, vcc
	v_trunc_f32_e32 v7, v4
	v_cmp_eq_f32_e32 vcc, v7, v4
	v_mul_f32_e32 v7, 0.5, v4
	v_trunc_f32_e32 v10, v7
	v_cmp_neq_f32_e64 s[0:1], v10, v7
	s_and_b64 s[0:1], vcc, s[0:1]
	v_cndmask_b32_e64 v7, 1.0, v3, s[0:1]
	s_brev_b32 s11, -2
	v_mov_b32_e32 v9, 0x7fc00000
	v_bfi_b32 v5, s11, v5, v7
	v_cmp_neq_f32_e64 s[2:3], v4, |v4|
	v_cmp_lt_f32_e64 s[22:23], |v3|, 1.0
	v_cndmask_b32_e32 v7, v9, v5, vcc
	v_cmp_gt_f32_e32 vcc, 0, v3
	s_xor_b64 s[2:3], s[2:3], s[22:23]
	v_cndmask_b32_e32 v5, v5, v7, vcc
	v_cndmask_b32_e64 v7, v8, 0, s[2:3]
	v_cmp_neq_f32_e64 vcc, |v3|, 1.0
	v_cndmask_b32_e32 v7, 1.0, v7, vcc
	v_cmp_class_f32_e64 vcc, v4, s6
	v_cndmask_b32_e32 v5, v5, v7, vcc
	v_cmp_eq_f32_e32 vcc, 0, v3
	v_cmp_gt_f32_e64 s[2:3], 0, v4
	s_xor_b64 s[2:3], s[2:3], vcc
	s_waitcnt vmcnt(0)
	v_cvt_f32_i32_e32 v6, v6
	v_cmp_class_f32_e64 s[22:23], v3, s6
	v_cndmask_b32_e64 v4, v8, 0, s[2:3]
	v_cndmask_b32_e64 v7, 0, v3, s[0:1]
	v_bfi_b32 v4, s11, v4, v7
	s_or_b64 vcc, vcc, s[22:23]
	v_cndmask_b32_e32 v4, v5, v4, vcc
	v_cmp_o_f32_e32 vcc, v3, v3
	v_cndmask_b32_e32 v3, v9, v4, vcc
	v_mul_f32_e32 v7, v3, v6
.LBB26_30:
	s_or_b64 exec, exec, s[20:21]
                                        ; implicit-def: $vgpr3
                                        ; implicit-def: $vgpr5
.LBB26_31:
	s_andn2_saveexec_b64 s[4:5], s[4:5]
	s_cbranch_execz .LBB26_33
; %bb.32:
	v_add_u32_e32 v3, s10, v3
	v_mov_b32_e32 v4, 0
	v_lshlrev_b64 v[3:4], 2, v[3:4]
	v_mov_b32_e32 v6, s25
	v_add_co_u32_e32 v3, vcc, s24, v3
	v_addc_co_u32_e32 v4, vcc, v6, v4, vcc
	global_load_dword v6, v[3:4], off
	v_cvt_f32_i32_e32 v3, v5
	v_cmp_neq_f32_e64 vcc, s9, 1.0
	v_mov_b32_e32 v5, s9
	s_mov_b32 s0, 0x3f2aaaab
	v_mul_f32_e32 v3, 0.5, v3
	v_cndmask_b32_e32 v4, 1.0, v3, vcc
	v_cmp_neq_f32_e32 vcc, 0, v4
	v_cndmask_b32_e32 v3, 1.0, v5, vcc
	v_frexp_mant_f32_e64 v5, |v3|
	v_cmp_gt_f32_e32 vcc, s0, v5
	v_cndmask_b32_e64 v11, 1.0, 2.0, vcc
	v_mul_f32_e32 v5, v5, v11
	v_add_f32_e32 v12, 1.0, v5
	v_cvt_f64_f32_e64 v[7:8], |v3|
	v_rcp_f32_e32 v13, v12
	v_add_f32_e32 v11, -1.0, v5
	v_add_f32_e32 v14, -1.0, v12
	v_frexp_exp_i32_f64_e32 v7, v[7:8]
	v_mul_f32_e32 v8, v11, v13
	v_sub_f32_e32 v5, v5, v14
	v_mul_f32_e32 v14, v12, v8
	v_fma_f32 v12, v8, v12, -v14
	v_fmac_f32_e32 v12, v8, v5
	v_add_f32_e32 v5, v14, v12
	v_sub_f32_e32 v15, v11, v5
	v_sub_f32_e32 v14, v5, v14
	;; [unrolled: 1-line block ×5, first 2 shown]
	v_add_f32_e32 v5, v12, v5
	v_add_f32_e32 v5, v15, v5
	v_mul_f32_e32 v5, v13, v5
	v_add_f32_e32 v11, v8, v5
	v_sub_f32_e32 v8, v11, v8
	v_mul_f32_e32 v12, v11, v11
	v_sub_f32_e32 v5, v5, v8
	v_fma_f32 v8, v11, v11, -v12
	v_add_f32_e32 v13, v5, v5
	v_fmac_f32_e32 v8, v11, v13
	v_mov_b32_e32 v9, 0x3e91f4c4
	v_add_f32_e32 v13, v12, v8
	v_mov_b32_e32 v10, 0x3ecccdef
	v_fmac_f32_e32 v9, 0x3e76c4e1, v13
	v_mul_f32_e32 v14, v11, v13
	v_sub_f32_e32 v12, v13, v12
	v_fmac_f32_e32 v10, v13, v9
	v_fma_f32 v9, v13, v11, -v14
	v_sub_f32_e32 v8, v8, v12
	v_fmac_f32_e32 v9, v13, v5
	v_mul_f32_e32 v12, v13, v10
	v_fmac_f32_e32 v9, v8, v11
	v_fma_f32 v13, v13, v10, -v12
	v_add_f32_e32 v15, v14, v9
	v_fmac_f32_e32 v13, v8, v10
	v_sub_f32_e32 v8, v15, v14
	v_add_f32_e32 v10, v12, v13
	v_sub_f32_e32 v8, v9, v8
	v_add_f32_e32 v9, 0x3f2aaaaa, v10
	v_sub_f32_e32 v12, v10, v12
	v_sub_f32_e32 v12, v13, v12
	v_add_f32_e32 v13, 0xbf2aaaaa, v9
	v_add_f32_e32 v12, 0x31739010, v12
	v_sub_f32_e32 v10, v10, v13
	v_subbrev_co_u32_e32 v7, vcc, 0, v7, vcc
	v_add_f32_e32 v10, v12, v10
	v_cvt_f32_i32_e32 v7, v7
	v_add_f32_e32 v12, v9, v10
	v_sub_f32_e32 v9, v9, v12
	v_mul_f32_e32 v13, v15, v12
	v_add_f32_e32 v9, v10, v9
	v_fma_f32 v10, v15, v12, -v13
	v_fmac_f32_e32 v10, v15, v9
	s_mov_b32 s1, 0x3f317218
	v_fmac_f32_e32 v10, v8, v12
	v_mul_f32_e32 v8, 0x3f317218, v7
	v_fma_f32 v9, v7, s1, -v8
	v_fmac_f32_e32 v9, 0xb102e308, v7
	v_ldexp_f32 v7, v11, 1
	v_add_f32_e32 v11, v8, v9
	v_sub_f32_e32 v8, v11, v8
	v_sub_f32_e32 v8, v9, v8
	v_add_f32_e32 v9, v13, v10
	v_sub_f32_e32 v12, v9, v13
	v_sub_f32_e32 v10, v10, v12
	v_add_f32_e32 v12, v7, v9
	v_ldexp_f32 v5, v5, 1
	v_sub_f32_e32 v7, v12, v7
	v_sub_f32_e32 v7, v9, v7
	v_add_f32_e32 v5, v5, v10
	v_add_f32_e32 v5, v5, v7
	;; [unrolled: 1-line block ×3, first 2 shown]
	v_sub_f32_e32 v9, v7, v12
	v_sub_f32_e32 v5, v5, v9
	v_add_f32_e32 v9, v11, v7
	v_sub_f32_e32 v10, v9, v11
	v_sub_f32_e32 v12, v9, v10
	;; [unrolled: 1-line block ×4, first 2 shown]
	v_add_f32_e32 v10, v8, v5
	v_add_f32_e32 v7, v7, v11
	v_sub_f32_e32 v11, v10, v8
	v_sub_f32_e32 v12, v10, v11
	v_sub_f32_e32 v8, v8, v12
	v_sub_f32_e32 v5, v5, v11
	v_add_f32_e32 v7, v10, v7
	v_add_f32_e32 v5, v5, v8
	;; [unrolled: 1-line block ×3, first 2 shown]
	v_sub_f32_e32 v9, v8, v9
	v_sub_f32_e32 v7, v7, v9
	v_add_f32_e32 v5, v5, v7
	v_add_f32_e32 v7, v8, v5
	v_sub_f32_e32 v8, v7, v8
	v_sub_f32_e32 v5, v5, v8
	v_mul_f32_e32 v8, v4, v7
	v_fma_f32 v7, v4, v7, -v8
	v_fmac_f32_e32 v7, v4, v5
	s_movk_i32 s6, 0x204
	v_add_f32_e32 v5, v8, v7
	v_cmp_class_f32_e64 vcc, v8, s6
	v_sub_f32_e32 v9, v5, v8
	v_cndmask_b32_e32 v5, v5, v8, vcc
	s_mov_b32 s1, 0x42b17218
	v_mov_b32_e32 v8, 0x37000000
	v_cmp_eq_f32_e32 vcc, s1, v5
	v_cndmask_b32_e32 v8, 0, v8, vcc
	v_sub_f32_e32 v7, v7, v9
	v_sub_f32_e32 v9, v5, v8
	s_mov_b32 s2, 0x3fb8aa3b
	v_mul_f32_e32 v10, 0x3fb8aa3b, v9
	v_fma_f32 v11, v9, s2, -v10
	v_rndne_f32_e32 v12, v10
	v_fmac_f32_e32 v11, 0x32a5705f, v9
	v_sub_f32_e32 v10, v10, v12
	v_add_f32_e32 v10, v10, v11
	v_exp_f32_e32 v10, v10
	v_cvt_i32_f32_e32 v11, v12
	s_mov_b32 s0, 0x7f800000
	v_cmp_neq_f32_e64 vcc, |v5|, s0
	s_mov_b32 s0, 0xc2ce8ed0
	v_cndmask_b32_e32 v5, 0, v7, vcc
	v_ldexp_f32 v7, v10, v11
	v_cmp_ngt_f32_e32 vcc, s0, v9
	v_add_f32_e32 v5, v8, v5
	v_cndmask_b32_e32 v7, 0, v7, vcc
	v_mov_b32_e32 v8, 0x7f800000
	v_cmp_nlt_f32_e32 vcc, s1, v9
	v_cndmask_b32_e32 v7, v8, v7, vcc
	v_fma_f32 v5, v7, v5, v7
	v_cmp_class_f32_e64 vcc, v7, s6
	v_cndmask_b32_e32 v5, v5, v7, vcc
	v_trunc_f32_e32 v7, v4
	v_cmp_eq_f32_e32 vcc, v7, v4
	v_mul_f32_e32 v7, 0.5, v4
	v_trunc_f32_e32 v10, v7
	v_cmp_neq_f32_e64 s[0:1], v10, v7
	s_and_b64 s[0:1], vcc, s[0:1]
	v_cndmask_b32_e64 v7, 1.0, v3, s[0:1]
	s_brev_b32 s9, -2
	v_mov_b32_e32 v9, 0x7fc00000
	v_bfi_b32 v5, s9, v5, v7
	v_cmp_neq_f32_e64 s[2:3], v4, |v4|
	v_cmp_lt_f32_e64 s[10:11], |v3|, 1.0
	v_cndmask_b32_e32 v7, v9, v5, vcc
	v_cmp_gt_f32_e32 vcc, 0, v3
	s_xor_b64 s[2:3], s[2:3], s[10:11]
	v_cndmask_b32_e32 v5, v5, v7, vcc
	v_cndmask_b32_e64 v7, v8, 0, s[2:3]
	v_cmp_neq_f32_e64 vcc, |v3|, 1.0
	v_cndmask_b32_e32 v7, 1.0, v7, vcc
	v_cmp_class_f32_e64 vcc, v4, s6
	v_cndmask_b32_e32 v5, v5, v7, vcc
	v_cmp_eq_f32_e32 vcc, 0, v3
	v_cmp_gt_f32_e64 s[2:3], 0, v4
	s_xor_b64 s[2:3], s[2:3], vcc
	s_waitcnt vmcnt(0)
	v_cvt_f32_i32_e32 v6, v6
	v_cmp_class_f32_e64 s[10:11], v3, s6
	v_cndmask_b32_e64 v4, v8, 0, s[2:3]
	v_cndmask_b32_e64 v7, 0, v3, s[0:1]
	v_bfi_b32 v4, s9, v4, v7
	s_or_b64 vcc, vcc, s[10:11]
	v_cndmask_b32_e32 v4, v5, v4, vcc
	v_cmp_o_f32_e32 vcc, v3, v3
	v_cndmask_b32_e32 v3, v9, v4, vcc
	v_mul_f32_e32 v7, v3, v6
.LBB26_33:
	s_or_b64 exec, exec, s[4:5]
	v_cmp_eq_f32_e64 s[0:1], s13, 0
	v_mul_f32_e32 v3, s12, v7
	s_and_b64 vcc, exec, s[0:1]
	s_cbranch_vccz .LBB26_19
.LBB26_34:
	v_mov_b32_e32 v4, s14
.LBB26_35:
	v_and_b32_e32 v5, 0x7fffffff, v3
	s_brev_b32 s0, 18
	v_cmp_nlt_f32_e64 s[8:9], |v3|, s0
	v_lshrrev_b32_e32 v2, 23, v5
                                        ; implicit-def: $vgpr7
                                        ; implicit-def: $vgpr6
	s_and_saveexec_b64 s[0:1], s[8:9]
	s_xor_b64 s[10:11], exec, s[0:1]
	s_cbranch_execz .LBB26_37
; %bb.36:
	v_and_b32_e32 v6, 0x7fffff, v5
	v_or_b32_e32 v15, 0x800000, v6
	s_mov_b32 s0, 0xfe5163ab
	v_mad_u64_u32 v[6:7], s[0:1], v15, s0, 0
	v_mov_b32_e32 v8, 0
	s_mov_b32 s0, 0x3c439041
	v_mad_u64_u32 v[9:10], s[0:1], v15, s0, v[7:8]
	s_mov_b32 s0, 0xdb629599
	v_add_u32_e32 v14, 0xffffff88, v2
	v_mov_b32_e32 v7, v10
	v_mad_u64_u32 v[10:11], s[0:1], v15, s0, v[7:8]
	s_mov_b32 s0, 0xf534ddc0
	v_not_b32_e32 v16, 63
	v_mov_b32_e32 v7, v11
	v_mad_u64_u32 v[11:12], s[0:1], v15, s0, v[7:8]
	s_mov_b32 s0, 0xfc2757d1
	v_cmp_lt_u32_e32 vcc, 63, v14
	v_mov_b32_e32 v7, v12
	v_mad_u64_u32 v[12:13], s[0:1], v15, s0, v[7:8]
	v_cndmask_b32_e32 v7, 0, v16, vcc
	v_add_u32_e32 v16, v7, v14
	v_mov_b32_e32 v7, v13
	s_mov_b32 s0, 0x4e441529
	v_mad_u64_u32 v[13:14], s[0:1], v15, s0, v[7:8]
	v_not_b32_e32 v17, 31
	v_cmp_lt_u32_e64 s[0:1], 31, v16
	v_cndmask_b32_e64 v7, 0, v17, s[0:1]
	v_add_u32_e32 v16, v7, v16
	v_mov_b32_e32 v7, v14
	s_mov_b32 s2, 0xa2f9836e
	v_mad_u64_u32 v[7:8], s[2:3], v15, s2, v[7:8]
	v_cmp_lt_u32_e64 s[2:3], 31, v16
	v_cndmask_b32_e64 v14, 0, v17, s[2:3]
	v_cndmask_b32_e32 v15, v13, v11, vcc
	v_cndmask_b32_e32 v7, v7, v12, vcc
	;; [unrolled: 1-line block ×3, first 2 shown]
	v_add_u32_e32 v14, v14, v16
	v_cndmask_b32_e64 v16, v7, v15, s[0:1]
	v_cndmask_b32_e64 v7, v8, v7, s[0:1]
	v_cndmask_b32_e32 v8, v12, v10, vcc
	v_cndmask_b32_e64 v12, v15, v8, s[0:1]
	v_cndmask_b32_e32 v9, v11, v9, vcc
	v_cndmask_b32_e64 v7, v7, v16, s[2:3]
	v_cndmask_b32_e64 v13, v16, v12, s[2:3]
	v_sub_u32_e32 v15, 32, v14
	v_cndmask_b32_e64 v8, v8, v9, s[0:1]
	v_alignbit_b32 v16, v7, v13, v15
	v_cmp_eq_u32_e64 s[4:5], 0, v14
	v_cndmask_b32_e64 v11, v12, v8, s[2:3]
	v_cndmask_b32_e64 v7, v16, v7, s[4:5]
	v_alignbit_b32 v12, v13, v11, v15
	v_cndmask_b32_e32 v6, v10, v6, vcc
	v_cndmask_b32_e64 v12, v12, v13, s[4:5]
	v_bfe_u32 v16, v7, 29, 1
	v_cndmask_b32_e64 v6, v9, v6, s[0:1]
	v_alignbit_b32 v13, v7, v12, 30
	v_sub_u32_e32 v17, 0, v16
	v_cndmask_b32_e64 v6, v8, v6, s[2:3]
	v_xor_b32_e32 v13, v13, v17
	v_alignbit_b32 v8, v11, v6, v15
	v_cndmask_b32_e64 v8, v8, v11, s[4:5]
	v_ffbh_u32_e32 v10, v13
	v_alignbit_b32 v9, v12, v8, 30
	v_min_u32_e32 v10, 32, v10
	v_alignbit_b32 v6, v8, v6, 30
	v_xor_b32_e32 v9, v9, v17
	v_sub_u32_e32 v11, 31, v10
	v_xor_b32_e32 v6, v6, v17
	v_alignbit_b32 v12, v13, v9, v11
	v_alignbit_b32 v6, v9, v6, v11
	;; [unrolled: 1-line block ×3, first 2 shown]
	v_ffbh_u32_e32 v9, v8
	v_min_u32_e32 v9, 32, v9
	v_lshrrev_b32_e32 v14, 29, v7
	v_not_b32_e32 v11, v9
	v_alignbit_b32 v6, v8, v6, v11
	v_lshlrev_b32_e32 v8, 31, v14
	v_or_b32_e32 v11, 0x33000000, v8
	v_add_lshl_u32 v9, v9, v10, 23
	v_lshrrev_b32_e32 v6, 9, v6
	v_sub_u32_e32 v9, v11, v9
	v_or_b32_e32 v8, 0.5, v8
	v_lshlrev_b32_e32 v10, 23, v10
	v_or_b32_e32 v6, v9, v6
	v_lshrrev_b32_e32 v9, 9, v12
	v_sub_u32_e32 v8, v8, v10
	v_or_b32_e32 v8, v9, v8
	s_mov_b32 s0, 0x3fc90fda
	v_mul_f32_e32 v9, 0x3fc90fda, v8
	v_fma_f32 v10, v8, s0, -v9
	v_fmac_f32_e32 v10, 0x33a22168, v8
	v_fmac_f32_e32 v10, 0x3fc90fda, v6
	v_lshrrev_b32_e32 v7, 30, v7
	v_add_f32_e32 v6, v9, v10
	v_add_u32_e32 v7, v16, v7
	s_andn2_saveexec_b64 s[0:1], s[10:11]
	s_cbranch_execz .LBB26_39
	s_branch .LBB26_38
.LBB26_37:
	s_andn2_saveexec_b64 s[0:1], s[10:11]
	s_cbranch_execz .LBB26_39
.LBB26_38:
	s_mov_b32 s2, 0x3f22f983
	v_mul_f32_e64 v6, |v3|, s2
	v_rndne_f32_e32 v8, v6
	s_mov_b32 s2, 0xbfc90fda
	v_cvt_i32_f32_e32 v7, v8
	v_fma_f32 v6, v8, s2, |v3|
	v_fmac_f32_e32 v6, 0xb3a22168, v8
	v_fmac_f32_e32 v6, 0xa7c234c4, v8
.LBB26_39:
	s_or_b64 exec, exec, s[0:1]
                                        ; implicit-def: $vgpr9
                                        ; implicit-def: $vgpr8
	s_and_saveexec_b64 s[0:1], s[8:9]
	s_xor_b64 s[8:9], exec, s[0:1]
	s_cbranch_execz .LBB26_41
; %bb.40:
	v_and_b32_e32 v8, 0x7fffff, v5
	v_or_b32_e32 v17, 0x800000, v8
	s_mov_b32 s0, 0xfe5163ab
	v_mad_u64_u32 v[8:9], s[0:1], v17, s0, 0
	v_mov_b32_e32 v10, 0
	s_mov_b32 s0, 0x3c439041
	v_mad_u64_u32 v[11:12], s[0:1], v17, s0, v[9:10]
	s_mov_b32 s0, 0xdb629599
	v_add_u32_e32 v2, 0xffffff88, v2
	v_mov_b32_e32 v9, v12
	v_mad_u64_u32 v[12:13], s[0:1], v17, s0, v[9:10]
	s_mov_b32 s0, 0xf534ddc0
	v_not_b32_e32 v16, 63
	v_mov_b32_e32 v9, v13
	v_mad_u64_u32 v[13:14], s[0:1], v17, s0, v[9:10]
	s_mov_b32 s0, 0xfc2757d1
	v_cmp_lt_u32_e32 vcc, 63, v2
	v_mov_b32_e32 v9, v14
	v_mad_u64_u32 v[14:15], s[0:1], v17, s0, v[9:10]
	v_cndmask_b32_e32 v9, 0, v16, vcc
	v_add_u32_e32 v2, v9, v2
	v_mov_b32_e32 v9, v15
	s_mov_b32 s0, 0x4e441529
	v_mad_u64_u32 v[15:16], s[0:1], v17, s0, v[9:10]
	v_not_b32_e32 v18, 31
	v_cmp_lt_u32_e64 s[0:1], 31, v2
	v_cndmask_b32_e64 v9, 0, v18, s[0:1]
	v_add_u32_e32 v2, v9, v2
	v_mov_b32_e32 v9, v16
	s_mov_b32 s2, 0xa2f9836e
	v_mad_u64_u32 v[9:10], s[2:3], v17, s2, v[9:10]
	v_cmp_lt_u32_e64 s[2:3], 31, v2
	v_cndmask_b32_e64 v16, 0, v18, s[2:3]
	v_add_u32_e32 v2, v16, v2
	v_cndmask_b32_e32 v16, v15, v13, vcc
	v_cndmask_b32_e32 v9, v9, v14, vcc
	;; [unrolled: 1-line block ×3, first 2 shown]
	v_cndmask_b32_e64 v17, v9, v16, s[0:1]
	v_cndmask_b32_e64 v9, v10, v9, s[0:1]
	v_cndmask_b32_e32 v10, v14, v12, vcc
	v_cndmask_b32_e64 v14, v16, v10, s[0:1]
	v_cndmask_b32_e64 v9, v9, v17, s[2:3]
	;; [unrolled: 1-line block ×3, first 2 shown]
	v_sub_u32_e32 v16, 32, v2
	v_alignbit_b32 v17, v9, v15, v16
	v_cmp_eq_u32_e64 s[4:5], 0, v2
	v_cndmask_b32_e64 v2, v17, v9, s[4:5]
	v_cndmask_b32_e32 v9, v13, v11, vcc
	v_cndmask_b32_e64 v10, v10, v9, s[0:1]
	v_cndmask_b32_e64 v11, v14, v10, s[2:3]
	v_alignbit_b32 v13, v15, v11, v16
	v_cndmask_b32_e32 v8, v12, v8, vcc
	v_cndmask_b32_e64 v13, v13, v15, s[4:5]
	v_bfe_u32 v17, v2, 29, 1
	v_cndmask_b32_e64 v8, v9, v8, s[0:1]
	v_alignbit_b32 v14, v2, v13, 30
	v_sub_u32_e32 v18, 0, v17
	v_cndmask_b32_e64 v8, v10, v8, s[2:3]
	v_xor_b32_e32 v14, v14, v18
	v_alignbit_b32 v9, v11, v8, v16
	v_cndmask_b32_e64 v9, v9, v11, s[4:5]
	v_ffbh_u32_e32 v11, v14
	v_alignbit_b32 v10, v13, v9, 30
	v_min_u32_e32 v11, 32, v11
	v_alignbit_b32 v8, v9, v8, 30
	v_xor_b32_e32 v10, v10, v18
	v_sub_u32_e32 v12, 31, v11
	v_xor_b32_e32 v8, v8, v18
	v_alignbit_b32 v13, v14, v10, v12
	v_alignbit_b32 v8, v10, v8, v12
	;; [unrolled: 1-line block ×3, first 2 shown]
	v_ffbh_u32_e32 v10, v9
	v_min_u32_e32 v10, 32, v10
	v_lshrrev_b32_e32 v15, 29, v2
	v_not_b32_e32 v12, v10
	v_alignbit_b32 v8, v9, v8, v12
	v_lshlrev_b32_e32 v9, 31, v15
	v_or_b32_e32 v12, 0x33000000, v9
	v_add_lshl_u32 v10, v10, v11, 23
	v_lshrrev_b32_e32 v8, 9, v8
	v_sub_u32_e32 v10, v12, v10
	v_or_b32_e32 v9, 0.5, v9
	v_lshlrev_b32_e32 v11, 23, v11
	v_or_b32_e32 v8, v10, v8
	v_lshrrev_b32_e32 v10, 9, v13
	v_sub_u32_e32 v9, v9, v11
	v_or_b32_e32 v9, v10, v9
	s_mov_b32 s0, 0x3fc90fda
	v_mul_f32_e32 v10, 0x3fc90fda, v9
	v_fma_f32 v11, v9, s0, -v10
	v_fmac_f32_e32 v11, 0x33a22168, v9
	v_fmac_f32_e32 v11, 0x3fc90fda, v8
	v_lshrrev_b32_e32 v2, 30, v2
	v_add_f32_e32 v8, v10, v11
	v_add_u32_e32 v9, v17, v2
	s_andn2_saveexec_b64 s[0:1], s[8:9]
	s_cbranch_execnz .LBB26_42
	s_branch .LBB26_43
.LBB26_41:
	s_andn2_saveexec_b64 s[0:1], s[8:9]
	s_cbranch_execz .LBB26_43
.LBB26_42:
	s_mov_b32 s2, 0x3f22f983
	v_mul_f32_e64 v2, |v3|, s2
	v_rndne_f32_e32 v2, v2
	s_mov_b32 s2, 0xbfc90fda
	v_cvt_i32_f32_e32 v9, v2
	v_fma_f32 v8, v2, s2, |v3|
	v_fmac_f32_e32 v8, 0xb3a22168, v2
	v_fmac_f32_e32 v8, 0xa7c234c4, v2
.LBB26_43:
	s_or_b64 exec, exec, s[0:1]
	v_ashrrev_i32_e32 v2, 31, v1
	s_lshr_b32 s0, s7, 31
	v_lshlrev_b64 v[1:2], 2, v[1:2]
	s_add_i32 s0, s7, s0
	s_ashr_i32 s0, s0, 1
	v_mov_b32_e32 v10, s17
	v_add_co_u32_e32 v1, vcc, s16, v1
	s_ashr_i32 s1, s0, 31
	v_addc_co_u32_e32 v2, vcc, v10, v2, vcc
	s_lshl_b64 s[0:1], s[0:1], 2
	v_mov_b32_e32 v12, s1
	v_add_co_u32_e32 v10, vcc, s0, v1
	v_addc_co_u32_e32 v11, vcc, v2, v12, vcc
	global_load_dword v13, v[1:2], off
	global_load_dword v14, v[10:11], off
	v_ashrrev_i32_e32 v1, 31, v0
	v_lshlrev_b64 v[0:1], 2, v[0:1]
	v_mov_b32_e32 v17, s19
	v_add_co_u32_e32 v0, vcc, s18, v0
	v_mul_f32_e32 v2, v6, v6
	v_mov_b32_e32 v16, 0xbab64f3b
	v_addc_co_u32_e32 v1, vcc, v17, v1, vcc
	v_mov_b32_e32 v17, 0xbab64f3b
	v_mul_f32_e32 v19, v8, v8
	v_mov_b32_e32 v10, 0x3c0881c4
	v_mov_b32_e32 v11, 0x3c0881c4
	v_mov_b32_e32 v18, 0x3d2aabf7
	v_fmac_f32_e32 v17, 0x37d75334, v2
	v_fmac_f32_e32 v16, 0x37d75334, v19
	v_mov_b32_e32 v15, 0xbe2aaa9d
	v_fmac_f32_e32 v11, 0xb94c1982, v2
	v_fmac_f32_e32 v10, 0xb94c1982, v19
	v_fma_f32 v17, v2, v17, v18
	v_fmac_f32_e32 v18, v19, v16
	v_lshlrev_b32_e32 v16, 30, v9
	v_fma_f32 v11, v2, v11, v15
	v_fmac_f32_e32 v15, v19, v10
	v_mov_b32_e32 v10, 0xbf000004
	v_xor_b32_e32 v5, v5, v3
	v_and_b32_e32 v16, 0x80000000, v16
	v_xor_b32_e32 v5, v5, v16
	v_and_b32_e32 v16, 1, v7
	v_fma_f32 v17, v2, v17, v10
	v_mul_f32_e32 v11, v2, v11
	v_fmac_f32_e32 v10, v19, v18
	v_and_b32_e32 v9, 1, v9
	v_mul_f32_e32 v15, v19, v15
	v_fmac_f32_e32 v6, v6, v11
	v_fma_f32 v2, v2, v17, 1.0
	v_cmp_eq_u32_e32 vcc, 0, v16
	v_lshlrev_b32_e32 v7, 30, v7
	v_fmac_f32_e32 v8, v8, v15
	v_fma_f32 v10, v19, v10, 1.0
	v_cndmask_b32_e64 v2, -v6, v2, vcc
	v_cmp_eq_u32_e32 vcc, 0, v9
	v_and_b32_e32 v7, 0x80000000, v7
	v_cndmask_b32_e32 v6, v10, v8, vcc
	v_xor_b32_e32 v2, v7, v2
	v_xor_b32_e32 v7, v5, v6
	v_add_co_u32_e32 v5, vcc, s0, v0
	s_movk_i32 s1, 0x1f8
	v_addc_co_u32_e32 v6, vcc, v1, v12, vcc
	v_mov_b32_e32 v18, 0x7fc00000
	v_cmp_class_f32_e64 vcc, v3, s1
	v_cndmask_b32_e32 v3, v18, v7, vcc
	v_cndmask_b32_e32 v2, v18, v2, vcc
	v_mul_f32_e64 v3, v3, -v4
	v_mul_f32_e32 v2, v4, v2
	s_waitcnt vmcnt(1)
	v_mul_f32_e32 v4, v13, v3
	s_waitcnt vmcnt(0)
	v_mul_f32_e32 v3, v14, v3
	v_fmac_f32_e32 v4, v2, v14
	v_fma_f32 v2, v2, v13, -v3
	global_store_dword v[0:1], v2, off
	global_store_dword v[5:6], v4, off
.LBB26_44:
	s_endpgm
	.section	.rodata,"a",@progbits
	.p2align	6, 0x0
	.amdhsa_kernel _ZL10rope_multiILb0ELb0EfEvPKT1_PS0_iiiiiiiiiiPKifff14rope_corr_dimsfPKf14mrope_sectionsb
		.amdhsa_group_segment_fixed_size 0
		.amdhsa_private_segment_fixed_size 0
		.amdhsa_kernarg_size 376
		.amdhsa_user_sgpr_count 6
		.amdhsa_user_sgpr_private_segment_buffer 1
		.amdhsa_user_sgpr_dispatch_ptr 0
		.amdhsa_user_sgpr_queue_ptr 0
		.amdhsa_user_sgpr_kernarg_segment_ptr 1
		.amdhsa_user_sgpr_dispatch_id 0
		.amdhsa_user_sgpr_flat_scratch_init 0
		.amdhsa_user_sgpr_private_segment_size 0
		.amdhsa_uses_dynamic_stack 0
		.amdhsa_system_sgpr_private_segment_wavefront_offset 0
		.amdhsa_system_sgpr_workgroup_id_x 1
		.amdhsa_system_sgpr_workgroup_id_y 1
		.amdhsa_system_sgpr_workgroup_id_z 0
		.amdhsa_system_sgpr_workgroup_info 0
		.amdhsa_system_vgpr_workitem_id 1
		.amdhsa_next_free_vgpr 20
		.amdhsa_next_free_sgpr 32
		.amdhsa_reserve_vcc 1
		.amdhsa_reserve_flat_scratch 0
		.amdhsa_float_round_mode_32 0
		.amdhsa_float_round_mode_16_64 0
		.amdhsa_float_denorm_mode_32 3
		.amdhsa_float_denorm_mode_16_64 3
		.amdhsa_dx10_clamp 1
		.amdhsa_ieee_mode 1
		.amdhsa_fp16_overflow 0
		.amdhsa_exception_fp_ieee_invalid_op 0
		.amdhsa_exception_fp_denorm_src 0
		.amdhsa_exception_fp_ieee_div_zero 0
		.amdhsa_exception_fp_ieee_overflow 0
		.amdhsa_exception_fp_ieee_underflow 0
		.amdhsa_exception_fp_ieee_inexact 0
		.amdhsa_exception_int_div_zero 0
	.end_amdhsa_kernel
	.section	.text._ZL10rope_multiILb0ELb0EfEvPKT1_PS0_iiiiiiiiiiPKifff14rope_corr_dimsfPKf14mrope_sectionsb,"axG",@progbits,_ZL10rope_multiILb0ELb0EfEvPKT1_PS0_iiiiiiiiiiPKifff14rope_corr_dimsfPKf14mrope_sectionsb,comdat
.Lfunc_end26:
	.size	_ZL10rope_multiILb0ELb0EfEvPKT1_PS0_iiiiiiiiiiPKifff14rope_corr_dimsfPKf14mrope_sectionsb, .Lfunc_end26-_ZL10rope_multiILb0ELb0EfEvPKT1_PS0_iiiiiiiiiiPKifff14rope_corr_dimsfPKf14mrope_sectionsb
                                        ; -- End function
	.set _ZL10rope_multiILb0ELb0EfEvPKT1_PS0_iiiiiiiiiiPKifff14rope_corr_dimsfPKf14mrope_sectionsb.num_vgpr, 20
	.set _ZL10rope_multiILb0ELb0EfEvPKT1_PS0_iiiiiiiiiiPKifff14rope_corr_dimsfPKf14mrope_sectionsb.num_agpr, 0
	.set _ZL10rope_multiILb0ELb0EfEvPKT1_PS0_iiiiiiiiiiPKifff14rope_corr_dimsfPKf14mrope_sectionsb.numbered_sgpr, 32
	.set _ZL10rope_multiILb0ELb0EfEvPKT1_PS0_iiiiiiiiiiPKifff14rope_corr_dimsfPKf14mrope_sectionsb.num_named_barrier, 0
	.set _ZL10rope_multiILb0ELb0EfEvPKT1_PS0_iiiiiiiiiiPKifff14rope_corr_dimsfPKf14mrope_sectionsb.private_seg_size, 0
	.set _ZL10rope_multiILb0ELb0EfEvPKT1_PS0_iiiiiiiiiiPKifff14rope_corr_dimsfPKf14mrope_sectionsb.uses_vcc, 1
	.set _ZL10rope_multiILb0ELb0EfEvPKT1_PS0_iiiiiiiiiiPKifff14rope_corr_dimsfPKf14mrope_sectionsb.uses_flat_scratch, 0
	.set _ZL10rope_multiILb0ELb0EfEvPKT1_PS0_iiiiiiiiiiPKifff14rope_corr_dimsfPKf14mrope_sectionsb.has_dyn_sized_stack, 0
	.set _ZL10rope_multiILb0ELb0EfEvPKT1_PS0_iiiiiiiiiiPKifff14rope_corr_dimsfPKf14mrope_sectionsb.has_recursion, 0
	.set _ZL10rope_multiILb0ELb0EfEvPKT1_PS0_iiiiiiiiiiPKifff14rope_corr_dimsfPKf14mrope_sectionsb.has_indirect_call, 0
	.section	.AMDGPU.csdata,"",@progbits
; Kernel info:
; codeLenInByte = 10176
; TotalNumSgprs: 36
; NumVgprs: 20
; ScratchSize: 0
; MemoryBound: 0
; FloatMode: 240
; IeeeMode: 1
; LDSByteSize: 0 bytes/workgroup (compile time only)
; SGPRBlocks: 4
; VGPRBlocks: 4
; NumSGPRsForWavesPerEU: 36
; NumVGPRsForWavesPerEU: 20
; Occupancy: 10
; WaveLimiterHint : 0
; COMPUTE_PGM_RSRC2:SCRATCH_EN: 0
; COMPUTE_PGM_RSRC2:USER_SGPR: 6
; COMPUTE_PGM_RSRC2:TRAP_HANDLER: 0
; COMPUTE_PGM_RSRC2:TGID_X_EN: 1
; COMPUTE_PGM_RSRC2:TGID_Y_EN: 1
; COMPUTE_PGM_RSRC2:TGID_Z_EN: 0
; COMPUTE_PGM_RSRC2:TIDIG_COMP_CNT: 1
	.section	.text._ZL10rope_multiILb0ELb1EfEvPKT1_PS0_iiiiiiiiiiPKifff14rope_corr_dimsfPKf14mrope_sectionsb,"axG",@progbits,_ZL10rope_multiILb0ELb1EfEvPKT1_PS0_iiiiiiiiiiPKifff14rope_corr_dimsfPKf14mrope_sectionsb,comdat
	.globl	_ZL10rope_multiILb0ELb1EfEvPKT1_PS0_iiiiiiiiiiPKifff14rope_corr_dimsfPKf14mrope_sectionsb ; -- Begin function _ZL10rope_multiILb0ELb1EfEvPKT1_PS0_iiiiiiiiiiPKifff14rope_corr_dimsfPKf14mrope_sectionsb
	.p2align	8
	.type	_ZL10rope_multiILb0ELb1EfEvPKT1_PS0_iiiiiiiiiiPKifff14rope_corr_dimsfPKf14mrope_sectionsb,@function
_ZL10rope_multiILb0ELb1EfEvPKT1_PS0_iiiiiiiiiiPKifff14rope_corr_dimsfPKf14mrope_sectionsb: ; @_ZL10rope_multiILb0ELb1EfEvPKT1_PS0_iiiiiiiiiiPKifff14rope_corr_dimsfPKf14mrope_sectionsb
; %bb.0:
	s_load_dword s2, s[4:5], 0x84
	s_load_dwordx8 s[8:15], s[4:5], 0x10
	s_add_u32 s0, s4, 0x78
	s_addc_u32 s1, s5, 0
	s_waitcnt lgkmcnt(0)
	s_lshr_b32 s2, s2, 16
	s_mul_i32 s7, s7, s2
	v_add_lshl_u32 v6, s7, v1, 1
	v_cmp_gt_i32_e32 vcc, s8, v6
	s_and_saveexec_b64 s[2:3], vcc
	s_cbranch_execz .LBB27_44
; %bb.1:
	s_mul_i32 s2, s10, s9
	s_abs_i32 s3, s2
	v_cvt_f32_u32_e32 v1, s3
	s_load_dword s0, s[0:1], 0xc
	s_sub_i32 s1, 0, s3
	v_cvt_f32_u32_e32 v2, s9
	v_rcp_iflag_f32_e32 v1, v1
	s_load_dwordx2 s[24:25], s[4:5], 0x30
	s_load_dwordx4 s[16:19], s[4:5], 0x0
	s_waitcnt lgkmcnt(0)
	s_and_b32 s0, s0, 0xffff
	s_mul_i32 s6, s6, s0
	v_mul_f32_e32 v1, 0x4f7ffffe, v1
	v_cvt_u32_f32_e32 v1, v1
	v_add_u32_e32 v0, s6, v0
	v_sub_u32_e32 v4, 0, v0
	v_max_i32_e32 v4, v0, v4
	v_mul_lo_u32 v3, s1, v1
	v_rcp_iflag_f32_e32 v2, v2
	s_sub_i32 s0, 0, s9
	v_xor_b32_e32 v5, s2, v0
	v_mul_hi_u32 v3, v1, v3
	v_mul_f32_e32 v2, 0x4f7ffffe, v2
	v_cvt_u32_f32_e32 v2, v2
	v_ashrrev_i32_e32 v5, 31, v5
	v_add_u32_e32 v1, v1, v3
	v_mul_hi_u32 v1, v4, v1
	v_mul_lo_u32 v3, s0, v2
	v_mul_lo_u32 v7, v1, s3
	v_add_u32_e32 v8, 1, v1
	v_mul_hi_u32 v3, v2, v3
	v_sub_u32_e32 v4, v4, v7
	v_cmp_le_u32_e32 vcc, s3, v4
	v_subrev_u32_e32 v7, s3, v4
	v_cndmask_b32_e32 v1, v1, v8, vcc
	v_cndmask_b32_e32 v4, v4, v7, vcc
	v_add_u32_e32 v7, 1, v1
	v_cmp_le_u32_e32 vcc, s3, v4
	v_cndmask_b32_e32 v1, v1, v7, vcc
	v_xor_b32_e32 v1, v1, v5
	v_sub_u32_e32 v5, v1, v5
	v_mul_lo_u32 v1, s2, v5
	v_add_u32_e32 v2, v2, v3
	v_sub_u32_e32 v3, v0, v1
	v_mul_hi_u32 v0, v3, v2
	v_ashrrev_i32_e32 v2, 1, v6
	v_mul_lo_u32 v1, v0, s9
	v_add_u32_e32 v4, 1, v0
	v_sub_u32_e32 v1, v3, v1
	v_cmp_le_u32_e32 vcc, s9, v1
	v_cndmask_b32_e32 v0, v0, v4, vcc
	v_subrev_u32_e32 v4, s9, v1
	v_cndmask_b32_e32 v1, v1, v4, vcc
	v_add_u32_e32 v4, 1, v0
	v_cmp_le_u32_e32 vcc, s9, v1
	v_cndmask_b32_e32 v4, v0, v4, vcc
	v_mul_lo_u32 v7, v4, s9
	v_mad_u64_u32 v[0:1], s[0:1], v5, s24, v[2:3]
	v_mul_lo_u32 v1, v4, s15
	v_sub_u32_e32 v3, v3, v7
	v_mul_lo_u32 v9, v3, s14
	v_mul_lo_u32 v3, v3, s11
	;; [unrolled: 1-line block ×3, first 2 shown]
	v_cmp_le_i32_e32 vcc, s25, v6
	v_add3_u32 v0, v0, v1, v9
	v_mad_u64_u32 v[7:8], s[0:1], v5, s13, v[2:3]
	v_add3_u32 v1, v7, v10, v3
	s_and_saveexec_b64 s[0:1], vcc
	s_xor_b64 s[0:1], exec, s[0:1]
	s_cbranch_execz .LBB27_3
; %bb.2:
	v_add_u32_e32 v3, v1, v2
	v_ashrrev_i32_e32 v4, 31, v3
	v_lshlrev_b64 v[3:4], 2, v[3:4]
	v_mov_b32_e32 v1, s17
	v_add_co_u32_e32 v3, vcc, s16, v3
	v_addc_co_u32_e32 v4, vcc, v1, v4, vcc
	global_load_dword v5, v[3:4], off
	v_add_u32_e32 v0, v0, v2
	v_ashrrev_i32_e32 v1, 31, v0
	v_lshlrev_b64 v[0:1], 2, v[0:1]
	v_mov_b32_e32 v2, s19
	v_add_co_u32_e32 v0, vcc, s18, v0
	v_addc_co_u32_e32 v1, vcc, v2, v1, vcc
                                        ; implicit-def: $vgpr6
	s_waitcnt vmcnt(0)
	global_store_dword v[0:1], v5, off
	global_load_dword v2, v[3:4], off offset:4
                                        ; implicit-def: $vgpr4
	s_waitcnt vmcnt(0)
	global_store_dword v[0:1], v2, off offset:4
                                        ; implicit-def: $vgpr1
                                        ; implicit-def: $vgpr0
                                        ; implicit-def: $vgpr2
.LBB27_3:
	s_andn2_saveexec_b64 s[0:1], s[0:1]
	s_cbranch_execz .LBB27_44
; %bb.4:
	s_load_dwordx4 s[20:23], s[4:5], 0x60
	s_load_dwordx2 s[8:9], s[4:5], 0x50
	v_sub_u32_e32 v7, 0, v2
	v_max_i32_e32 v7, v2, v7
	s_waitcnt lgkmcnt(0)
	s_add_i32 s1, s21, s20
	s_add_i32 s0, s1, s22
	;; [unrolled: 1-line block ×3, first 2 shown]
	s_abs_i32 s2, s2
	v_cvt_f32_u32_e32 v3, s2
	s_sub_i32 s3, 0, s2
	v_rcp_iflag_f32_e32 v3, v3
	v_mul_f32_e32 v3, 0x4f7ffffe, v3
	v_cvt_u32_f32_e32 v3, v3
	v_mul_lo_u32 v5, s3, v3
	s_load_dword s3, s[4:5], 0x70
	s_load_dwordx2 s[26:27], s[4:5], 0x38
	s_load_dwordx4 s[12:15], s[4:5], 0x40
	s_waitcnt lgkmcnt(0)
	s_and_b32 s3, s3, 1
	v_mul_hi_u32 v5, v3, v5
	s_cmp_eq_u32 s3, 0
	v_add_u32_e32 v3, v3, v5
	v_mul_hi_u32 v3, v7, v3
	v_mul_lo_u32 v5, v3, s2
	v_ashrrev_i32_e32 v3, 31, v2
	v_sub_u32_e32 v5, v7, v5
	v_subrev_u32_e32 v7, s2, v5
	v_cmp_le_u32_e32 vcc, s2, v5
	v_cndmask_b32_e32 v5, v5, v7, vcc
	v_subrev_u32_e32 v7, s2, v5
	v_cmp_le_u32_e32 vcc, s2, v5
	v_cndmask_b32_e32 v5, v5, v7, vcc
	v_xor_b32_e32 v5, v5, v3
	v_sub_u32_e32 v7, v5, v3
	s_cbranch_scc0 .LBB27_18
; %bb.5:
	v_cmp_le_i32_e32 vcc, s20, v7
                                        ; implicit-def: $vgpr5
	s_and_saveexec_b64 s[2:3], vcc
	s_xor_b64 s[28:29], exec, s[2:3]
	s_cbranch_execz .LBB27_15
; %bb.6:
	v_cmp_le_i32_e32 vcc, s1, v7
                                        ; implicit-def: $vgpr5
	s_and_saveexec_b64 s[2:3], vcc
	s_xor_b64 s[30:31], exec, s[2:3]
	s_cbranch_execz .LBB27_12
; %bb.7:
	v_cvt_f32_i32_e32 v5, v6
	v_cmp_le_i32_e32 vcc, s0, v7
	v_cmp_neq_f32_e64 s[0:1], s9, 1.0
	v_mov_b32_e32 v9, s9
	v_mul_f32_e32 v5, 0.5, v5
	v_cndmask_b32_e64 v8, 1.0, v5, s[0:1]
	v_cmp_neq_f32_e64 s[0:1], 0, v8
	v_cndmask_b32_e64 v5, 1.0, v9, s[0:1]
	v_frexp_mant_f32_e64 v9, |v5|
	s_mov_b32 s0, 0x3f2aaaab
	v_cmp_gt_f32_e64 s[0:1], s0, v9
	v_cndmask_b32_e64 v10, 1.0, 2.0, s[0:1]
	v_mul_f32_e32 v9, v9, v10
	v_add_f32_e32 v10, 1.0, v9
	v_rcp_f32_e32 v11, v10
	v_add_f32_e32 v12, -1.0, v9
	v_add_f32_e32 v13, -1.0, v10
	v_sub_f32_e32 v9, v9, v13
	v_mul_f32_e32 v13, v12, v11
	v_mul_f32_e32 v14, v10, v13
	v_fma_f32 v10, v13, v10, -v14
	v_fmac_f32_e32 v10, v13, v9
	v_add_f32_e32 v9, v14, v10
	v_sub_f32_e32 v15, v12, v9
	v_sub_f32_e32 v14, v9, v14
	;; [unrolled: 1-line block ×5, first 2 shown]
	v_add_f32_e32 v9, v10, v9
	v_add_f32_e32 v9, v15, v9
	v_mul_f32_e32 v9, v11, v9
	v_add_f32_e32 v11, v13, v9
	v_sub_f32_e32 v10, v11, v13
	v_sub_f32_e32 v12, v9, v10
	v_mul_f32_e32 v9, v11, v11
	v_fma_f32 v10, v11, v11, -v9
	v_add_f32_e32 v13, v12, v12
	v_fmac_f32_e32 v10, v11, v13
	v_add_f32_e32 v13, v9, v10
	v_mov_b32_e32 v14, 0x3e91f4c4
	v_sub_f32_e32 v9, v13, v9
	v_fmac_f32_e32 v14, 0x3e76c4e1, v13
	v_mov_b32_e32 v15, 0x3ecccdef
	v_sub_f32_e32 v9, v10, v9
	v_mul_f32_e32 v10, v11, v13
	v_fmac_f32_e32 v15, v13, v14
	v_fma_f32 v14, v13, v11, -v10
	v_fmac_f32_e32 v14, v13, v12
	v_fmac_f32_e32 v14, v9, v11
	v_add_f32_e32 v16, v10, v14
	v_sub_f32_e32 v10, v16, v10
	v_sub_f32_e32 v14, v14, v10
	v_mul_f32_e32 v10, v13, v15
	v_fma_f32 v13, v13, v15, -v10
	v_fmac_f32_e32 v13, v9, v15
	v_add_f32_e32 v15, v10, v13
	v_sub_f32_e32 v9, v15, v10
	v_sub_f32_e32 v13, v13, v9
	v_cvt_f64_f32_e64 v[9:10], |v5|
	v_add_f32_e32 v17, 0x3f2aaaaa, v15
	v_add_f32_e32 v18, 0xbf2aaaaa, v17
	;; [unrolled: 1-line block ×3, first 2 shown]
	v_frexp_exp_i32_f64_e32 v9, v[9:10]
	v_sub_f32_e32 v15, v15, v18
	v_add_f32_e32 v10, v13, v15
	v_add_f32_e32 v13, v17, v10
	v_sub_f32_e32 v15, v17, v13
	v_add_f32_e32 v10, v10, v15
	v_mul_f32_e32 v15, v16, v13
	v_fma_f32 v17, v16, v13, -v15
	v_subbrev_co_u32_e64 v9, s[0:1], 0, v9, s[0:1]
	v_cvt_f32_i32_e32 v9, v9
	v_fmac_f32_e32 v17, v16, v10
	s_mov_b32 s0, 0x3f317218
	v_fmac_f32_e32 v17, v14, v13
	v_mul_f32_e32 v10, 0x3f317218, v9
	v_fma_f32 v13, v9, s0, -v10
	v_fmac_f32_e32 v13, 0xb102e308, v9
	v_ldexp_f32 v9, v12, 1
	v_add_f32_e32 v12, v10, v13
	v_sub_f32_e32 v10, v12, v10
	v_ldexp_f32 v11, v11, 1
	v_sub_f32_e32 v10, v13, v10
	v_add_f32_e32 v13, v15, v17
	v_sub_f32_e32 v14, v13, v15
	v_add_f32_e32 v15, v11, v13
	v_sub_f32_e32 v14, v17, v14
	v_sub_f32_e32 v11, v15, v11
	;; [unrolled: 1-line block ×3, first 2 shown]
	v_add_f32_e32 v9, v9, v14
	v_add_f32_e32 v9, v9, v11
	;; [unrolled: 1-line block ×3, first 2 shown]
	v_sub_f32_e32 v13, v11, v15
	v_sub_f32_e32 v9, v9, v13
	v_add_f32_e32 v13, v12, v11
	v_sub_f32_e32 v14, v13, v12
	v_sub_f32_e32 v15, v13, v14
	;; [unrolled: 1-line block ×4, first 2 shown]
	v_add_f32_e32 v11, v11, v12
	v_add_f32_e32 v12, v10, v9
	v_sub_f32_e32 v14, v12, v10
	v_sub_f32_e32 v15, v12, v14
	;; [unrolled: 1-line block ×4, first 2 shown]
	v_add_f32_e32 v9, v9, v10
	v_add_f32_e32 v10, v12, v11
	v_add_f32_e32 v11, v13, v10
	v_sub_f32_e32 v12, v11, v13
	v_sub_f32_e32 v10, v10, v12
	v_add_f32_e32 v9, v9, v10
	v_add_f32_e32 v10, v11, v9
	v_sub_f32_e32 v11, v10, v11
	v_sub_f32_e32 v9, v9, v11
	v_mul_f32_e32 v11, v8, v10
	v_fma_f32 v10, v8, v10, -v11
	v_fmac_f32_e32 v10, v8, v9
	s_movk_i32 s11, 0x204
	v_add_f32_e32 v9, v11, v10
	v_cmp_class_f32_e64 s[0:1], v11, s11
	v_sub_f32_e32 v12, v9, v11
	v_cndmask_b32_e64 v9, v9, v11, s[0:1]
	s_mov_b32 s3, 0x42b17218
	v_mov_b32_e32 v11, 0x37000000
	v_cmp_eq_f32_e64 s[0:1], s3, v9
	v_cndmask_b32_e64 v11, 0, v11, s[0:1]
	v_sub_f32_e32 v10, v10, v12
	v_sub_f32_e32 v12, v9, v11
	s_mov_b32 s0, 0x3fb8aa3b
	v_mul_f32_e32 v13, 0x3fb8aa3b, v12
	v_fma_f32 v14, v12, s0, -v13
	v_rndne_f32_e32 v15, v13
	v_fmac_f32_e32 v14, 0x32a5705f, v12
	v_sub_f32_e32 v13, v13, v15
	v_add_f32_e32 v13, v13, v14
	v_exp_f32_e32 v13, v13
	v_cvt_i32_f32_e32 v14, v15
	s_mov_b32 s2, 0x7f800000
	v_cmp_neq_f32_e64 s[0:1], |v9|, s2
	v_cndmask_b32_e64 v9, 0, v10, s[0:1]
	s_mov_b32 s0, 0xc2ce8ed0
	v_ldexp_f32 v10, v13, v14
	v_cmp_ngt_f32_e64 s[0:1], s0, v12
	v_add_f32_e32 v9, v11, v9
	v_cndmask_b32_e64 v10, 0, v10, s[0:1]
	v_mov_b32_e32 v11, 0x7f800000
	v_cmp_nlt_f32_e64 s[0:1], s3, v12
	v_cndmask_b32_e64 v10, v11, v10, s[0:1]
	v_fma_f32 v9, v10, v9, v10
	v_cmp_class_f32_e64 s[0:1], v10, s11
	v_cndmask_b32_e64 v9, v9, v10, s[0:1]
	v_trunc_f32_e32 v10, v8
	v_cmp_eq_f32_e64 s[0:1], v10, v8
	v_mul_f32_e32 v10, 0.5, v8
	v_trunc_f32_e32 v13, v10
	v_cmp_neq_f32_e64 s[2:3], v13, v10
	s_and_b64 s[2:3], s[0:1], s[2:3]
	v_cndmask_b32_e64 v10, 1.0, v5, s[2:3]
	s_brev_b32 s23, -2
	v_mov_b32_e32 v12, 0x7fc00000
	v_bfi_b32 v9, s23, v9, v10
	v_cndmask_b32_e64 v10, v12, v9, s[0:1]
	v_cmp_gt_f32_e64 s[0:1], 0, v5
	v_cndmask_b32_e64 v9, v9, v10, s[0:1]
	v_cmp_neq_f32_e64 s[0:1], v8, |v8|
	v_cmp_lt_f32_e64 s[6:7], |v5|, 1.0
	s_xor_b64 s[0:1], s[0:1], s[6:7]
	v_cndmask_b32_e64 v10, v11, 0, s[0:1]
	v_cmp_neq_f32_e64 s[0:1], |v5|, 1.0
	v_cndmask_b32_e64 v10, 1.0, v10, s[0:1]
	v_cmp_class_f32_e64 s[0:1], v8, s11
	v_cndmask_b32_e64 v9, v9, v10, s[0:1]
	v_cmp_eq_f32_e64 s[0:1], 0, v5
	v_cmp_gt_f32_e64 s[6:7], 0, v8
	s_xor_b64 s[6:7], s[6:7], s[0:1]
	v_cmp_class_f32_e64 s[34:35], v5, s11
	v_cndmask_b32_e64 v8, v11, 0, s[6:7]
	v_cndmask_b32_e64 v10, 0, v5, s[2:3]
	v_bfi_b32 v8, s23, v8, v10
	s_or_b64 s[0:1], s[0:1], s[34:35]
	v_cndmask_b32_e64 v8, v9, v8, s[0:1]
	v_cmp_o_f32_e64 s[0:1], v5, v5
	v_cndmask_b32_e64 v8, v12, v8, s[0:1]
                                        ; implicit-def: $vgpr5
	s_and_saveexec_b64 s[0:1], vcc
	s_xor_b64 s[0:1], exec, s[0:1]
	s_cbranch_execz .LBB27_9
; %bb.8:
	v_mad_u64_u32 v[9:10], s[2:3], s10, 3, v[4:5]
	v_mov_b32_e32 v10, 0
	v_mov_b32_e32 v5, s27
	v_lshlrev_b64 v[9:10], 2, v[9:10]
	v_add_co_u32_e32 v9, vcc, s26, v9
	v_addc_co_u32_e32 v10, vcc, v5, v10, vcc
	global_load_dword v5, v[9:10], off
	s_waitcnt vmcnt(0)
	v_cvt_f32_i32_e32 v5, v5
	v_mul_f32_e32 v5, v8, v5
                                        ; implicit-def: $vgpr8
.LBB27_9:
	s_andn2_saveexec_b64 s[0:1], s[0:1]
	s_cbranch_execz .LBB27_11
; %bb.10:
	v_lshl_add_u32 v9, s10, 1, v4
	v_mov_b32_e32 v10, 0
	v_lshlrev_b64 v[9:10], 2, v[9:10]
	v_mov_b32_e32 v5, s27
	v_add_co_u32_e32 v9, vcc, s26, v9
	v_addc_co_u32_e32 v10, vcc, v5, v10, vcc
	global_load_dword v5, v[9:10], off
	s_waitcnt vmcnt(0)
	v_cvt_f32_i32_e32 v5, v5
	v_mul_f32_e32 v5, v8, v5
.LBB27_11:
	s_or_b64 exec, exec, s[0:1]
.LBB27_12:
	s_andn2_saveexec_b64 s[6:7], s[30:31]
	s_cbranch_execz .LBB27_14
; %bb.13:
	v_add_u32_e32 v8, s10, v4
	v_mov_b32_e32 v9, 0
	v_lshlrev_b64 v[8:9], 2, v[8:9]
	v_mov_b32_e32 v5, s27
	v_add_co_u32_e32 v8, vcc, s26, v8
	v_addc_co_u32_e32 v9, vcc, v5, v9, vcc
	v_cvt_f32_i32_e32 v5, v6
	v_cmp_neq_f32_e64 vcc, s9, 1.0
	global_load_dword v9, v[8:9], off
	v_mov_b32_e32 v10, s9
	v_mul_f32_e32 v5, 0.5, v5
	v_cndmask_b32_e32 v8, 1.0, v5, vcc
	v_cmp_neq_f32_e32 vcc, 0, v8
	v_cndmask_b32_e32 v5, 1.0, v10, vcc
	s_mov_b32 s0, 0x3f2aaaab
	v_frexp_mant_f32_e64 v14, |v5|
	v_cmp_gt_f32_e32 vcc, s0, v14
	v_cndmask_b32_e64 v15, 1.0, 2.0, vcc
	v_mul_f32_e32 v14, v14, v15
	v_add_f32_e32 v16, 1.0, v14
	v_cvt_f64_f32_e64 v[10:11], |v5|
	v_rcp_f32_e32 v17, v16
	v_add_f32_e32 v15, -1.0, v14
	v_add_f32_e32 v18, -1.0, v16
	v_frexp_exp_i32_f64_e32 v10, v[10:11]
	v_sub_f32_e32 v11, v14, v18
	v_mul_f32_e32 v14, v15, v17
	v_mul_f32_e32 v18, v16, v14
	v_fma_f32 v16, v14, v16, -v18
	v_fmac_f32_e32 v16, v14, v11
	v_add_f32_e32 v11, v18, v16
	v_sub_f32_e32 v19, v15, v11
	v_sub_f32_e32 v18, v11, v18
	;; [unrolled: 1-line block ×5, first 2 shown]
	v_add_f32_e32 v11, v16, v11
	v_add_f32_e32 v11, v19, v11
	v_mul_f32_e32 v11, v17, v11
	v_add_f32_e32 v15, v14, v11
	v_sub_f32_e32 v14, v15, v14
	v_mul_f32_e32 v16, v15, v15
	v_sub_f32_e32 v11, v11, v14
	v_fma_f32 v14, v15, v15, -v16
	v_add_f32_e32 v17, v11, v11
	v_fmac_f32_e32 v14, v15, v17
	v_mov_b32_e32 v12, 0x3e91f4c4
	v_add_f32_e32 v17, v16, v14
	v_mov_b32_e32 v13, 0x3ecccdef
	v_fmac_f32_e32 v12, 0x3e76c4e1, v17
	v_sub_f32_e32 v16, v17, v16
	v_mul_f32_e32 v18, v15, v17
	v_fmac_f32_e32 v13, v17, v12
	v_sub_f32_e32 v12, v14, v16
	v_fma_f32 v14, v17, v15, -v18
	v_fmac_f32_e32 v14, v17, v11
	v_mul_f32_e32 v16, v17, v13
	v_fmac_f32_e32 v14, v12, v15
	v_fma_f32 v17, v17, v13, -v16
	v_add_f32_e32 v19, v18, v14
	v_fmac_f32_e32 v17, v12, v13
	v_sub_f32_e32 v12, v19, v18
	v_add_f32_e32 v13, v16, v17
	v_sub_f32_e32 v12, v14, v12
	v_add_f32_e32 v14, 0x3f2aaaaa, v13
	v_sub_f32_e32 v16, v13, v16
	v_sub_f32_e32 v16, v17, v16
	v_add_f32_e32 v17, 0xbf2aaaaa, v14
	v_add_f32_e32 v16, 0x31739010, v16
	v_sub_f32_e32 v13, v13, v17
	v_subbrev_co_u32_e32 v10, vcc, 0, v10, vcc
	v_add_f32_e32 v13, v16, v13
	v_cvt_f32_i32_e32 v10, v10
	v_add_f32_e32 v16, v14, v13
	v_sub_f32_e32 v14, v14, v16
	v_mul_f32_e32 v17, v19, v16
	v_add_f32_e32 v13, v13, v14
	v_fma_f32 v14, v19, v16, -v17
	v_fmac_f32_e32 v14, v19, v13
	s_mov_b32 s1, 0x3f317218
	v_fmac_f32_e32 v14, v12, v16
	v_mul_f32_e32 v12, 0x3f317218, v10
	v_fma_f32 v13, v10, s1, -v12
	v_fmac_f32_e32 v13, 0xb102e308, v10
	v_ldexp_f32 v10, v11, 1
	v_ldexp_f32 v11, v15, 1
	v_add_f32_e32 v15, v12, v13
	v_sub_f32_e32 v12, v15, v12
	v_sub_f32_e32 v12, v13, v12
	v_add_f32_e32 v13, v17, v14
	v_sub_f32_e32 v16, v13, v17
	v_sub_f32_e32 v14, v14, v16
	;; [unrolled: 3-line block ×3, first 2 shown]
	v_add_f32_e32 v10, v10, v14
	v_add_f32_e32 v10, v10, v11
	;; [unrolled: 1-line block ×3, first 2 shown]
	v_sub_f32_e32 v13, v11, v16
	v_sub_f32_e32 v10, v10, v13
	v_add_f32_e32 v13, v15, v11
	v_sub_f32_e32 v14, v13, v15
	v_sub_f32_e32 v16, v13, v14
	;; [unrolled: 1-line block ×4, first 2 shown]
	v_add_f32_e32 v14, v12, v10
	v_add_f32_e32 v11, v11, v15
	v_sub_f32_e32 v15, v14, v12
	v_sub_f32_e32 v16, v14, v15
	;; [unrolled: 1-line block ×4, first 2 shown]
	v_add_f32_e32 v11, v14, v11
	v_add_f32_e32 v10, v10, v12
	;; [unrolled: 1-line block ×3, first 2 shown]
	v_sub_f32_e32 v13, v12, v13
	v_sub_f32_e32 v11, v11, v13
	v_add_f32_e32 v10, v10, v11
	v_add_f32_e32 v11, v12, v10
	v_sub_f32_e32 v12, v11, v12
	v_sub_f32_e32 v10, v10, v12
	v_mul_f32_e32 v12, v8, v11
	v_fma_f32 v11, v8, v11, -v12
	v_fmac_f32_e32 v11, v8, v10
	s_movk_i32 s11, 0x204
	v_add_f32_e32 v10, v12, v11
	v_cmp_class_f32_e64 vcc, v12, s11
	v_sub_f32_e32 v13, v10, v12
	v_cndmask_b32_e32 v10, v10, v12, vcc
	s_mov_b32 s1, 0x42b17218
	v_mov_b32_e32 v12, 0x37000000
	v_cmp_eq_f32_e32 vcc, s1, v10
	v_cndmask_b32_e32 v12, 0, v12, vcc
	v_sub_f32_e32 v11, v11, v13
	v_sub_f32_e32 v13, v10, v12
	s_mov_b32 s2, 0x3fb8aa3b
	v_mul_f32_e32 v14, 0x3fb8aa3b, v13
	v_fma_f32 v15, v13, s2, -v14
	v_rndne_f32_e32 v16, v14
	v_fmac_f32_e32 v15, 0x32a5705f, v13
	v_sub_f32_e32 v14, v14, v16
	v_add_f32_e32 v14, v14, v15
	v_exp_f32_e32 v14, v14
	v_cvt_i32_f32_e32 v15, v16
	s_mov_b32 s0, 0x7f800000
	v_cmp_neq_f32_e64 vcc, |v10|, s0
	s_mov_b32 s0, 0xc2ce8ed0
	v_cndmask_b32_e32 v10, 0, v11, vcc
	v_ldexp_f32 v11, v14, v15
	v_cmp_ngt_f32_e32 vcc, s0, v13
	v_add_f32_e32 v10, v12, v10
	v_cndmask_b32_e32 v11, 0, v11, vcc
	v_mov_b32_e32 v12, 0x7f800000
	v_cmp_nlt_f32_e32 vcc, s1, v13
	v_cndmask_b32_e32 v11, v12, v11, vcc
	v_fma_f32 v10, v11, v10, v11
	v_cmp_class_f32_e64 vcc, v11, s11
	v_cndmask_b32_e32 v10, v10, v11, vcc
	v_trunc_f32_e32 v11, v8
	v_cmp_eq_f32_e32 vcc, v11, v8
	v_mul_f32_e32 v11, 0.5, v8
	v_trunc_f32_e32 v14, v11
	v_cmp_neq_f32_e64 s[0:1], v14, v11
	s_and_b64 s[0:1], vcc, s[0:1]
	v_cndmask_b32_e64 v11, 1.0, v5, s[0:1]
	s_brev_b32 s23, -2
	v_mov_b32_e32 v13, 0x7fc00000
	v_bfi_b32 v10, s23, v10, v11
	v_cmp_neq_f32_e64 s[2:3], v8, |v8|
	v_cmp_lt_f32_e64 s[30:31], |v5|, 1.0
	v_cndmask_b32_e32 v11, v13, v10, vcc
	v_cmp_gt_f32_e32 vcc, 0, v5
	s_xor_b64 s[2:3], s[2:3], s[30:31]
	v_cndmask_b32_e32 v10, v10, v11, vcc
	v_cndmask_b32_e64 v11, v12, 0, s[2:3]
	v_cmp_neq_f32_e64 vcc, |v5|, 1.0
	v_cndmask_b32_e32 v11, 1.0, v11, vcc
	v_cmp_class_f32_e64 vcc, v8, s11
	v_cndmask_b32_e32 v10, v10, v11, vcc
	v_cmp_eq_f32_e32 vcc, 0, v5
	v_cmp_gt_f32_e64 s[2:3], 0, v8
	s_xor_b64 s[2:3], s[2:3], vcc
	s_waitcnt vmcnt(0)
	v_cvt_f32_i32_e32 v9, v9
	v_cmp_class_f32_e64 s[30:31], v5, s11
	v_cndmask_b32_e64 v8, v12, 0, s[2:3]
	v_cndmask_b32_e64 v11, 0, v5, s[0:1]
	v_bfi_b32 v8, s23, v8, v11
	s_or_b64 vcc, vcc, s[30:31]
	v_cndmask_b32_e32 v8, v10, v8, vcc
	v_cmp_o_f32_e32 vcc, v5, v5
	v_cndmask_b32_e32 v5, v13, v8, vcc
	v_mul_f32_e32 v5, v5, v9
.LBB27_14:
	s_or_b64 exec, exec, s[6:7]
.LBB27_15:
	s_andn2_saveexec_b64 s[6:7], s[28:29]
	s_cbranch_execz .LBB27_17
; %bb.16:
	v_mov_b32_e32 v5, 0
	v_lshlrev_b64 v[8:9], 2, v[4:5]
	v_mov_b32_e32 v5, s27
	v_add_co_u32_e32 v8, vcc, s26, v8
	v_addc_co_u32_e32 v9, vcc, v5, v9, vcc
	v_cvt_f32_i32_e32 v5, v6
	v_cmp_neq_f32_e64 vcc, s9, 1.0
	global_load_dword v9, v[8:9], off
	v_mov_b32_e32 v10, s9
	v_mul_f32_e32 v5, 0.5, v5
	v_cndmask_b32_e32 v8, 1.0, v5, vcc
	v_cmp_neq_f32_e32 vcc, 0, v8
	v_cndmask_b32_e32 v5, 1.0, v10, vcc
	s_mov_b32 s0, 0x3f2aaaab
	v_frexp_mant_f32_e64 v14, |v5|
	v_cmp_gt_f32_e32 vcc, s0, v14
	v_cndmask_b32_e64 v15, 1.0, 2.0, vcc
	v_mul_f32_e32 v14, v14, v15
	v_add_f32_e32 v16, 1.0, v14
	v_cvt_f64_f32_e64 v[10:11], |v5|
	v_rcp_f32_e32 v17, v16
	v_add_f32_e32 v15, -1.0, v14
	v_add_f32_e32 v18, -1.0, v16
	v_frexp_exp_i32_f64_e32 v10, v[10:11]
	v_sub_f32_e32 v11, v14, v18
	v_mul_f32_e32 v14, v15, v17
	v_mul_f32_e32 v18, v16, v14
	v_fma_f32 v16, v14, v16, -v18
	v_fmac_f32_e32 v16, v14, v11
	v_add_f32_e32 v11, v18, v16
	v_sub_f32_e32 v19, v15, v11
	v_sub_f32_e32 v18, v11, v18
	;; [unrolled: 1-line block ×5, first 2 shown]
	v_add_f32_e32 v11, v16, v11
	v_add_f32_e32 v11, v19, v11
	v_mul_f32_e32 v11, v17, v11
	v_add_f32_e32 v16, v14, v11
	v_sub_f32_e32 v14, v16, v14
	v_mul_f32_e32 v17, v16, v16
	v_sub_f32_e32 v11, v11, v14
	v_fma_f32 v14, v16, v16, -v17
	v_add_f32_e32 v18, v11, v11
	v_fmac_f32_e32 v14, v16, v18
	v_mov_b32_e32 v12, 0x3e91f4c4
	v_add_f32_e32 v18, v17, v14
	v_mov_b32_e32 v13, 0x3ecccdef
	v_fmac_f32_e32 v12, 0x3e76c4e1, v18
	v_sub_f32_e32 v17, v18, v17
	v_mul_f32_e32 v19, v16, v18
	v_fmac_f32_e32 v13, v18, v12
	v_sub_f32_e32 v12, v14, v17
	v_fma_f32 v14, v18, v16, -v19
	v_fmac_f32_e32 v14, v18, v11
	v_mul_f32_e32 v17, v18, v13
	v_fmac_f32_e32 v14, v12, v16
	v_fma_f32 v18, v18, v13, -v17
	v_add_f32_e32 v20, v19, v14
	v_fmac_f32_e32 v18, v12, v13
	v_sub_f32_e32 v12, v20, v19
	v_add_f32_e32 v13, v17, v18
	v_sub_f32_e32 v12, v14, v12
	v_add_f32_e32 v14, 0x3f2aaaaa, v13
	v_sub_f32_e32 v17, v13, v17
	v_sub_f32_e32 v17, v18, v17
	v_add_f32_e32 v18, 0xbf2aaaaa, v14
	v_subbrev_co_u32_e32 v10, vcc, 0, v10, vcc
	v_add_f32_e32 v17, 0x31739010, v17
	v_sub_f32_e32 v13, v13, v18
	v_cvt_f32_i32_e32 v10, v10
	v_add_f32_e32 v13, v17, v13
	v_add_f32_e32 v17, v14, v13
	v_sub_f32_e32 v14, v14, v17
	v_mul_f32_e32 v18, v20, v17
	v_add_f32_e32 v13, v13, v14
	v_fma_f32 v14, v20, v17, -v18
	s_mov_b32 s1, 0x3f317218
	v_mul_f32_e32 v15, 0x3f317218, v10
	v_fmac_f32_e32 v14, v20, v13
	v_fmac_f32_e32 v14, v12, v17
	v_fma_f32 v12, v10, s1, -v15
	v_fmac_f32_e32 v12, 0xb102e308, v10
	v_add_f32_e32 v13, v15, v12
	v_sub_f32_e32 v15, v13, v15
	v_sub_f32_e32 v12, v12, v15
	v_add_f32_e32 v15, v18, v14
	v_ldexp_f32 v10, v11, 1
	v_ldexp_f32 v11, v16, 1
	v_sub_f32_e32 v16, v15, v18
	v_sub_f32_e32 v14, v14, v16
	v_add_f32_e32 v16, v11, v15
	v_sub_f32_e32 v11, v16, v11
	v_sub_f32_e32 v11, v15, v11
	v_add_f32_e32 v10, v10, v14
	v_add_f32_e32 v10, v10, v11
	;; [unrolled: 1-line block ×3, first 2 shown]
	v_sub_f32_e32 v14, v11, v16
	v_sub_f32_e32 v10, v10, v14
	v_add_f32_e32 v14, v13, v11
	v_sub_f32_e32 v15, v14, v13
	v_sub_f32_e32 v16, v14, v15
	;; [unrolled: 1-line block ×4, first 2 shown]
	v_add_f32_e32 v11, v11, v13
	v_add_f32_e32 v13, v12, v10
	v_sub_f32_e32 v15, v13, v12
	v_sub_f32_e32 v16, v13, v15
	;; [unrolled: 1-line block ×4, first 2 shown]
	v_add_f32_e32 v11, v13, v11
	v_add_f32_e32 v10, v10, v12
	;; [unrolled: 1-line block ×3, first 2 shown]
	v_sub_f32_e32 v13, v12, v14
	v_sub_f32_e32 v11, v11, v13
	v_add_f32_e32 v10, v10, v11
	v_add_f32_e32 v11, v12, v10
	v_sub_f32_e32 v12, v11, v12
	v_sub_f32_e32 v10, v10, v12
	v_mul_f32_e32 v12, v8, v11
	v_fma_f32 v11, v8, v11, -v12
	v_fmac_f32_e32 v11, v8, v10
	s_movk_i32 s11, 0x204
	v_add_f32_e32 v10, v12, v11
	v_cmp_class_f32_e64 vcc, v12, s11
	v_sub_f32_e32 v13, v10, v12
	v_cndmask_b32_e32 v10, v10, v12, vcc
	s_mov_b32 s1, 0x42b17218
	v_mov_b32_e32 v12, 0x37000000
	v_cmp_eq_f32_e32 vcc, s1, v10
	v_cndmask_b32_e32 v12, 0, v12, vcc
	v_sub_f32_e32 v11, v11, v13
	v_sub_f32_e32 v13, v10, v12
	s_mov_b32 s2, 0x3fb8aa3b
	v_mul_f32_e32 v14, 0x3fb8aa3b, v13
	v_fma_f32 v15, v13, s2, -v14
	v_rndne_f32_e32 v16, v14
	v_fmac_f32_e32 v15, 0x32a5705f, v13
	v_sub_f32_e32 v14, v14, v16
	v_add_f32_e32 v14, v14, v15
	v_exp_f32_e32 v14, v14
	v_cvt_i32_f32_e32 v15, v16
	s_mov_b32 s0, 0x7f800000
	v_cmp_neq_f32_e64 vcc, |v10|, s0
	s_mov_b32 s0, 0xc2ce8ed0
	v_cndmask_b32_e32 v10, 0, v11, vcc
	v_ldexp_f32 v11, v14, v15
	v_cmp_ngt_f32_e32 vcc, s0, v13
	v_add_f32_e32 v10, v12, v10
	v_cndmask_b32_e32 v11, 0, v11, vcc
	v_mov_b32_e32 v12, 0x7f800000
	v_cmp_nlt_f32_e32 vcc, s1, v13
	v_cndmask_b32_e32 v11, v12, v11, vcc
	v_fma_f32 v10, v11, v10, v11
	v_cmp_class_f32_e64 vcc, v11, s11
	v_cndmask_b32_e32 v10, v10, v11, vcc
	v_trunc_f32_e32 v11, v8
	v_cmp_eq_f32_e32 vcc, v11, v8
	v_mul_f32_e32 v11, 0.5, v8
	v_trunc_f32_e32 v14, v11
	v_cmp_neq_f32_e64 s[0:1], v14, v11
	s_and_b64 s[0:1], vcc, s[0:1]
	v_cndmask_b32_e64 v11, 1.0, v5, s[0:1]
	s_brev_b32 s23, -2
	v_mov_b32_e32 v13, 0x7fc00000
	v_bfi_b32 v10, s23, v10, v11
	v_cmp_neq_f32_e64 s[2:3], v8, |v8|
	v_cmp_lt_f32_e64 s[28:29], |v5|, 1.0
	v_cndmask_b32_e32 v11, v13, v10, vcc
	v_cmp_gt_f32_e32 vcc, 0, v5
	s_xor_b64 s[2:3], s[2:3], s[28:29]
	v_cndmask_b32_e32 v10, v10, v11, vcc
	v_cndmask_b32_e64 v11, v12, 0, s[2:3]
	v_cmp_neq_f32_e64 vcc, |v5|, 1.0
	v_cndmask_b32_e32 v11, 1.0, v11, vcc
	v_cmp_class_f32_e64 vcc, v8, s11
	v_cndmask_b32_e32 v10, v10, v11, vcc
	v_cmp_eq_f32_e32 vcc, 0, v5
	v_cmp_gt_f32_e64 s[2:3], 0, v8
	s_xor_b64 s[2:3], s[2:3], vcc
	s_waitcnt vmcnt(0)
	v_cvt_f32_i32_e32 v9, v9
	v_cmp_class_f32_e64 s[28:29], v5, s11
	v_cndmask_b32_e64 v8, v12, 0, s[2:3]
	v_cndmask_b32_e64 v11, 0, v5, s[0:1]
	v_bfi_b32 v8, s23, v8, v11
	s_or_b64 vcc, vcc, s[28:29]
	v_cndmask_b32_e32 v8, v10, v8, vcc
	v_cmp_o_f32_e32 vcc, v5, v5
	v_cndmask_b32_e32 v5, v13, v8, vcc
	v_mul_f32_e32 v5, v5, v9
.LBB27_17:
	s_or_b64 exec, exec, s[6:7]
	s_cbranch_execz .LBB27_19
	s_branch .LBB27_32
.LBB27_18:
                                        ; implicit-def: $vgpr5
.LBB27_19:
	s_mov_b32 s0, 0x55555556
	v_mul_hi_i32 v5, v7, s0
	s_mul_i32 s0, s21, 3
	v_cmp_le_i32_e64 s[0:1], s0, v7
	v_lshrrev_b32_e32 v8, 31, v5
	v_add_u32_e32 v5, v5, v8
	v_lshl_add_u32 v5, v5, 1, v5
	v_sub_u32_e32 v8, v7, v5
	v_cmp_ne_u32_e32 vcc, 1, v8
	s_or_b64 s[0:1], vcc, s[0:1]
                                        ; implicit-def: $vgpr5
	s_and_saveexec_b64 s[2:3], s[0:1]
	s_xor_b64 s[6:7], exec, s[2:3]
	s_cbranch_execz .LBB27_29
; %bb.20:
	s_mul_i32 s0, s22, 3
	v_cmp_ne_u32_e32 vcc, 2, v8
	v_cmp_le_i32_e64 s[0:1], s0, v7
	s_or_b64 s[0:1], vcc, s[0:1]
                                        ; implicit-def: $vgpr5
	s_and_saveexec_b64 s[2:3], s[0:1]
	s_xor_b64 s[22:23], exec, s[2:3]
	s_cbranch_execz .LBB27_26
; %bb.21:
	s_mul_i32 s0, s20, 3
	v_cmp_ne_u32_e32 vcc, 0, v8
	v_cmp_le_i32_e64 s[0:1], s0, v7
	s_or_b64 s[0:1], vcc, s[0:1]
                                        ; implicit-def: $vgpr5
	s_and_saveexec_b64 s[2:3], s[0:1]
	s_xor_b64 s[20:21], exec, s[2:3]
	s_cbranch_execz .LBB27_23
; %bb.22:
	v_mad_u64_u32 v[4:5], s[0:1], s10, 3, v[4:5]
	v_mov_b32_e32 v5, 0
	v_mov_b32_e32 v7, s27
	v_lshlrev_b64 v[4:5], 2, v[4:5]
	s_mov_b32 s0, 0x3f2aaaab
	v_add_co_u32_e32 v4, vcc, s26, v4
	v_addc_co_u32_e32 v5, vcc, v7, v5, vcc
	global_load_dword v7, v[4:5], off
	v_cvt_f32_i32_e32 v4, v6
	v_cmp_neq_f32_e64 vcc, s9, 1.0
	v_mov_b32_e32 v6, s9
	v_mov_b32_e32 v10, 0x3e91f4c4
	v_mul_f32_e32 v4, 0.5, v4
	v_cndmask_b32_e32 v5, 1.0, v4, vcc
	v_cmp_neq_f32_e32 vcc, 0, v5
	v_cndmask_b32_e32 v4, 1.0, v6, vcc
	v_frexp_mant_f32_e64 v6, |v4|
	v_cmp_gt_f32_e32 vcc, s0, v6
	v_cndmask_b32_e64 v12, 1.0, 2.0, vcc
	v_mul_f32_e32 v6, v6, v12
	v_add_f32_e32 v13, 1.0, v6
	v_cvt_f64_f32_e64 v[8:9], |v4|
	v_rcp_f32_e32 v14, v13
	v_add_f32_e32 v12, -1.0, v6
	v_add_f32_e32 v15, -1.0, v13
	v_frexp_exp_i32_f64_e32 v8, v[8:9]
	v_mul_f32_e32 v9, v12, v14
	v_sub_f32_e32 v6, v6, v15
	v_mul_f32_e32 v15, v13, v9
	v_fma_f32 v13, v9, v13, -v15
	v_fmac_f32_e32 v13, v9, v6
	v_add_f32_e32 v6, v15, v13
	v_sub_f32_e32 v16, v12, v6
	v_sub_f32_e32 v15, v6, v15
	v_sub_f32_e32 v12, v12, v16
	v_sub_f32_e32 v13, v15, v13
	v_sub_f32_e32 v6, v12, v6
	v_add_f32_e32 v6, v13, v6
	v_add_f32_e32 v6, v16, v6
	v_mul_f32_e32 v6, v14, v6
	v_add_f32_e32 v14, v9, v6
	v_sub_f32_e32 v9, v14, v9
	v_mul_f32_e32 v15, v14, v14
	v_sub_f32_e32 v6, v6, v9
	v_fma_f32 v9, v14, v14, -v15
	v_add_f32_e32 v16, v6, v6
	v_fmac_f32_e32 v9, v14, v16
	v_add_f32_e32 v16, v15, v9
	v_mov_b32_e32 v11, 0x3ecccdef
	v_fmac_f32_e32 v10, 0x3e76c4e1, v16
	v_mul_f32_e32 v17, v14, v16
	v_sub_f32_e32 v15, v16, v15
	v_fmac_f32_e32 v11, v16, v10
	v_fma_f32 v10, v16, v14, -v17
	v_sub_f32_e32 v9, v9, v15
	v_fmac_f32_e32 v10, v16, v6
	v_mul_f32_e32 v15, v16, v11
	v_fmac_f32_e32 v10, v9, v14
	v_fma_f32 v16, v16, v11, -v15
	v_add_f32_e32 v18, v17, v10
	v_fmac_f32_e32 v16, v9, v11
	v_sub_f32_e32 v9, v18, v17
	v_add_f32_e32 v11, v15, v16
	v_subbrev_co_u32_e32 v8, vcc, 0, v8, vcc
	v_sub_f32_e32 v9, v10, v9
	v_add_f32_e32 v10, 0x3f2aaaaa, v11
	v_sub_f32_e32 v15, v11, v15
	v_cvt_f32_i32_e32 v8, v8
	v_sub_f32_e32 v15, v16, v15
	v_add_f32_e32 v16, 0xbf2aaaaa, v10
	v_add_f32_e32 v15, 0x31739010, v15
	v_sub_f32_e32 v11, v11, v16
	v_add_f32_e32 v11, v15, v11
	v_add_f32_e32 v15, v10, v11
	s_mov_b32 s1, 0x3f317218
	v_mul_f32_e32 v12, 0x3f317218, v8
	v_sub_f32_e32 v10, v10, v15
	v_mul_f32_e32 v16, v18, v15
	v_fma_f32 v13, v8, s1, -v12
	v_add_f32_e32 v10, v11, v10
	v_fma_f32 v11, v18, v15, -v16
	v_fmac_f32_e32 v11, v18, v10
	v_fmac_f32_e32 v13, 0xb102e308, v8
	;; [unrolled: 1-line block ×3, first 2 shown]
	v_add_f32_e32 v9, v12, v13
	v_sub_f32_e32 v10, v9, v12
	v_add_f32_e32 v12, v16, v11
	v_ldexp_f32 v8, v14, 1
	v_sub_f32_e32 v10, v13, v10
	v_sub_f32_e32 v13, v12, v16
	v_sub_f32_e32 v11, v11, v13
	v_add_f32_e32 v13, v8, v12
	v_ldexp_f32 v6, v6, 1
	v_sub_f32_e32 v8, v13, v8
	v_sub_f32_e32 v8, v12, v8
	v_add_f32_e32 v6, v6, v11
	v_add_f32_e32 v6, v6, v8
	;; [unrolled: 1-line block ×3, first 2 shown]
	v_sub_f32_e32 v11, v8, v13
	v_sub_f32_e32 v6, v6, v11
	v_add_f32_e32 v11, v9, v8
	v_sub_f32_e32 v12, v11, v9
	v_sub_f32_e32 v13, v11, v12
	;; [unrolled: 1-line block ×4, first 2 shown]
	v_add_f32_e32 v8, v8, v9
	v_add_f32_e32 v9, v10, v6
	v_sub_f32_e32 v12, v9, v10
	v_sub_f32_e32 v13, v9, v12
	v_add_f32_e32 v8, v9, v8
	v_sub_f32_e32 v10, v10, v13
	v_sub_f32_e32 v6, v6, v12
	v_add_f32_e32 v9, v11, v8
	v_add_f32_e32 v6, v6, v10
	v_sub_f32_e32 v10, v9, v11
	v_sub_f32_e32 v8, v8, v10
	v_add_f32_e32 v6, v6, v8
	v_add_f32_e32 v8, v9, v6
	v_sub_f32_e32 v9, v8, v9
	v_sub_f32_e32 v6, v6, v9
	v_mul_f32_e32 v9, v5, v8
	v_fma_f32 v8, v5, v8, -v9
	v_fmac_f32_e32 v8, v5, v6
	s_movk_i32 s11, 0x204
	v_add_f32_e32 v6, v9, v8
	v_cmp_class_f32_e64 vcc, v9, s11
	v_sub_f32_e32 v10, v6, v9
	v_cndmask_b32_e32 v6, v6, v9, vcc
	s_mov_b32 s1, 0x42b17218
	v_mov_b32_e32 v9, 0x37000000
	v_cmp_eq_f32_e32 vcc, s1, v6
	v_cndmask_b32_e32 v9, 0, v9, vcc
	v_sub_f32_e32 v8, v8, v10
	v_sub_f32_e32 v10, v6, v9
	s_mov_b32 s2, 0x3fb8aa3b
	v_mul_f32_e32 v11, 0x3fb8aa3b, v10
	v_fma_f32 v12, v10, s2, -v11
	v_rndne_f32_e32 v13, v11
	v_fmac_f32_e32 v12, 0x32a5705f, v10
	v_sub_f32_e32 v11, v11, v13
	v_add_f32_e32 v11, v11, v12
	v_exp_f32_e32 v11, v11
	v_cvt_i32_f32_e32 v12, v13
	s_mov_b32 s0, 0x7f800000
	v_cmp_neq_f32_e64 vcc, |v6|, s0
	s_mov_b32 s0, 0xc2ce8ed0
	v_cndmask_b32_e32 v6, 0, v8, vcc
	v_ldexp_f32 v8, v11, v12
	v_cmp_ngt_f32_e32 vcc, s0, v10
	v_add_f32_e32 v6, v9, v6
	v_cndmask_b32_e32 v8, 0, v8, vcc
	v_mov_b32_e32 v9, 0x7f800000
	v_cmp_nlt_f32_e32 vcc, s1, v10
	v_cndmask_b32_e32 v8, v9, v8, vcc
	v_fma_f32 v6, v8, v6, v8
	v_cmp_class_f32_e64 vcc, v8, s11
	v_cndmask_b32_e32 v6, v6, v8, vcc
	v_trunc_f32_e32 v8, v5
	v_cmp_eq_f32_e32 vcc, v8, v5
	v_mul_f32_e32 v8, 0.5, v5
	v_trunc_f32_e32 v11, v8
	v_cmp_neq_f32_e64 s[0:1], v11, v8
	s_and_b64 s[0:1], vcc, s[0:1]
	v_cndmask_b32_e64 v8, 1.0, v4, s[0:1]
	s_brev_b32 s24, -2
	v_mov_b32_e32 v10, 0x7fc00000
	v_bfi_b32 v6, s24, v6, v8
	v_cmp_neq_f32_e64 s[2:3], v5, |v5|
	v_cmp_lt_f32_e64 s[28:29], |v4|, 1.0
	v_cndmask_b32_e32 v8, v10, v6, vcc
	v_cmp_gt_f32_e32 vcc, 0, v4
	s_xor_b64 s[2:3], s[2:3], s[28:29]
	v_cndmask_b32_e32 v6, v6, v8, vcc
	v_cndmask_b32_e64 v8, v9, 0, s[2:3]
	v_cmp_neq_f32_e64 vcc, |v4|, 1.0
	v_cndmask_b32_e32 v8, 1.0, v8, vcc
	v_cmp_class_f32_e64 vcc, v5, s11
	v_cndmask_b32_e32 v6, v6, v8, vcc
	v_cmp_eq_f32_e32 vcc, 0, v4
	v_cmp_gt_f32_e64 s[2:3], 0, v5
	s_xor_b64 s[2:3], s[2:3], vcc
	s_waitcnt vmcnt(0)
	v_cvt_f32_i32_e32 v7, v7
	v_cmp_class_f32_e64 s[28:29], v4, s11
	v_cndmask_b32_e64 v5, v9, 0, s[2:3]
	v_cndmask_b32_e64 v8, 0, v4, s[0:1]
	v_bfi_b32 v5, s24, v5, v8
	s_or_b64 vcc, vcc, s[28:29]
	v_cndmask_b32_e32 v5, v6, v5, vcc
	v_cmp_o_f32_e32 vcc, v4, v4
	v_cndmask_b32_e32 v4, v10, v5, vcc
	v_mul_f32_e32 v5, v4, v7
                                        ; implicit-def: $vgpr4
                                        ; implicit-def: $vgpr6
.LBB27_23:
	s_andn2_saveexec_b64 s[20:21], s[20:21]
	s_cbranch_execz .LBB27_25
; %bb.24:
	v_mov_b32_e32 v5, 0
	v_lshlrev_b64 v[4:5], 2, v[4:5]
	v_mov_b32_e32 v7, s27
	v_add_co_u32_e32 v4, vcc, s26, v4
	v_addc_co_u32_e32 v5, vcc, v7, v5, vcc
	global_load_dword v7, v[4:5], off
	v_cvt_f32_i32_e32 v4, v6
	v_cmp_neq_f32_e64 vcc, s9, 1.0
	v_mov_b32_e32 v6, s9
	s_mov_b32 s0, 0x3f2aaaab
	v_mul_f32_e32 v4, 0.5, v4
	v_cndmask_b32_e32 v5, 1.0, v4, vcc
	v_cmp_neq_f32_e32 vcc, 0, v5
	v_cndmask_b32_e32 v4, 1.0, v6, vcc
	v_frexp_mant_f32_e64 v6, |v4|
	v_cmp_gt_f32_e32 vcc, s0, v6
	v_cndmask_b32_e64 v12, 1.0, 2.0, vcc
	v_mul_f32_e32 v6, v6, v12
	v_add_f32_e32 v13, 1.0, v6
	v_cvt_f64_f32_e64 v[8:9], |v4|
	v_rcp_f32_e32 v14, v13
	v_add_f32_e32 v12, -1.0, v6
	v_add_f32_e32 v15, -1.0, v13
	v_frexp_exp_i32_f64_e32 v8, v[8:9]
	v_mul_f32_e32 v9, v12, v14
	v_sub_f32_e32 v6, v6, v15
	v_mul_f32_e32 v15, v13, v9
	v_fma_f32 v13, v9, v13, -v15
	v_fmac_f32_e32 v13, v9, v6
	v_add_f32_e32 v6, v15, v13
	v_sub_f32_e32 v16, v12, v6
	v_sub_f32_e32 v15, v6, v15
	;; [unrolled: 1-line block ×5, first 2 shown]
	v_add_f32_e32 v6, v13, v6
	v_add_f32_e32 v6, v16, v6
	v_mul_f32_e32 v6, v14, v6
	v_add_f32_e32 v13, v9, v6
	v_sub_f32_e32 v9, v13, v9
	v_mul_f32_e32 v14, v13, v13
	v_sub_f32_e32 v6, v6, v9
	v_fma_f32 v9, v13, v13, -v14
	v_add_f32_e32 v15, v6, v6
	v_fmac_f32_e32 v9, v13, v15
	v_mov_b32_e32 v10, 0x3e91f4c4
	v_add_f32_e32 v15, v14, v9
	v_mov_b32_e32 v11, 0x3ecccdef
	v_fmac_f32_e32 v10, 0x3e76c4e1, v15
	v_mul_f32_e32 v16, v13, v15
	v_sub_f32_e32 v14, v15, v14
	v_fmac_f32_e32 v11, v15, v10
	v_fma_f32 v10, v15, v13, -v16
	v_sub_f32_e32 v9, v9, v14
	v_fmac_f32_e32 v10, v15, v6
	v_mul_f32_e32 v14, v15, v11
	v_fmac_f32_e32 v10, v9, v13
	v_fma_f32 v15, v15, v11, -v14
	v_add_f32_e32 v17, v16, v10
	v_fmac_f32_e32 v15, v9, v11
	v_sub_f32_e32 v9, v17, v16
	v_add_f32_e32 v11, v14, v15
	v_sub_f32_e32 v9, v10, v9
	v_add_f32_e32 v10, 0x3f2aaaaa, v11
	v_sub_f32_e32 v14, v11, v14
	v_sub_f32_e32 v14, v15, v14
	v_add_f32_e32 v15, 0xbf2aaaaa, v10
	v_subbrev_co_u32_e32 v8, vcc, 0, v8, vcc
	v_add_f32_e32 v14, 0x31739010, v14
	v_sub_f32_e32 v11, v11, v15
	v_cvt_f32_i32_e32 v8, v8
	v_add_f32_e32 v11, v14, v11
	v_add_f32_e32 v14, v10, v11
	v_sub_f32_e32 v10, v10, v14
	v_mul_f32_e32 v15, v17, v14
	v_add_f32_e32 v10, v11, v10
	v_fma_f32 v11, v17, v14, -v15
	s_mov_b32 s1, 0x3f317218
	v_mul_f32_e32 v12, 0x3f317218, v8
	v_fmac_f32_e32 v11, v17, v10
	v_fmac_f32_e32 v11, v9, v14
	v_fma_f32 v9, v8, s1, -v12
	v_fmac_f32_e32 v9, 0xb102e308, v8
	v_add_f32_e32 v10, v12, v9
	v_sub_f32_e32 v12, v10, v12
	v_sub_f32_e32 v9, v9, v12
	v_add_f32_e32 v12, v15, v11
	v_ldexp_f32 v8, v13, 1
	v_sub_f32_e32 v13, v12, v15
	v_sub_f32_e32 v11, v11, v13
	v_add_f32_e32 v13, v8, v12
	v_ldexp_f32 v6, v6, 1
	v_sub_f32_e32 v8, v13, v8
	v_sub_f32_e32 v8, v12, v8
	v_add_f32_e32 v6, v6, v11
	v_add_f32_e32 v6, v6, v8
	;; [unrolled: 1-line block ×3, first 2 shown]
	v_sub_f32_e32 v11, v8, v13
	v_sub_f32_e32 v6, v6, v11
	v_add_f32_e32 v11, v10, v8
	v_sub_f32_e32 v12, v11, v10
	v_sub_f32_e32 v13, v11, v12
	;; [unrolled: 1-line block ×4, first 2 shown]
	v_add_f32_e32 v8, v8, v10
	v_add_f32_e32 v10, v9, v6
	v_sub_f32_e32 v12, v10, v9
	v_sub_f32_e32 v13, v10, v12
	;; [unrolled: 1-line block ×4, first 2 shown]
	v_add_f32_e32 v8, v10, v8
	v_add_f32_e32 v6, v6, v9
	;; [unrolled: 1-line block ×3, first 2 shown]
	v_sub_f32_e32 v10, v9, v11
	v_sub_f32_e32 v8, v8, v10
	v_add_f32_e32 v6, v6, v8
	v_add_f32_e32 v8, v9, v6
	v_sub_f32_e32 v9, v8, v9
	v_sub_f32_e32 v6, v6, v9
	v_mul_f32_e32 v9, v5, v8
	v_fma_f32 v8, v5, v8, -v9
	v_fmac_f32_e32 v8, v5, v6
	s_movk_i32 s11, 0x204
	v_add_f32_e32 v6, v9, v8
	v_cmp_class_f32_e64 vcc, v9, s11
	v_sub_f32_e32 v10, v6, v9
	v_cndmask_b32_e32 v6, v6, v9, vcc
	s_mov_b32 s1, 0x42b17218
	v_mov_b32_e32 v9, 0x37000000
	v_cmp_eq_f32_e32 vcc, s1, v6
	v_cndmask_b32_e32 v9, 0, v9, vcc
	v_sub_f32_e32 v8, v8, v10
	v_sub_f32_e32 v10, v6, v9
	s_mov_b32 s2, 0x3fb8aa3b
	v_mul_f32_e32 v11, 0x3fb8aa3b, v10
	v_fma_f32 v12, v10, s2, -v11
	v_rndne_f32_e32 v13, v11
	v_fmac_f32_e32 v12, 0x32a5705f, v10
	v_sub_f32_e32 v11, v11, v13
	v_add_f32_e32 v11, v11, v12
	v_exp_f32_e32 v11, v11
	v_cvt_i32_f32_e32 v12, v13
	s_mov_b32 s0, 0x7f800000
	v_cmp_neq_f32_e64 vcc, |v6|, s0
	s_mov_b32 s0, 0xc2ce8ed0
	v_cndmask_b32_e32 v6, 0, v8, vcc
	v_ldexp_f32 v8, v11, v12
	v_cmp_ngt_f32_e32 vcc, s0, v10
	v_add_f32_e32 v6, v9, v6
	v_cndmask_b32_e32 v8, 0, v8, vcc
	v_mov_b32_e32 v9, 0x7f800000
	v_cmp_nlt_f32_e32 vcc, s1, v10
	v_cndmask_b32_e32 v8, v9, v8, vcc
	v_fma_f32 v6, v8, v6, v8
	v_cmp_class_f32_e64 vcc, v8, s11
	v_cndmask_b32_e32 v6, v6, v8, vcc
	v_trunc_f32_e32 v8, v5
	v_cmp_eq_f32_e32 vcc, v8, v5
	v_mul_f32_e32 v8, 0.5, v5
	v_trunc_f32_e32 v11, v8
	v_cmp_neq_f32_e64 s[0:1], v11, v8
	s_and_b64 s[0:1], vcc, s[0:1]
	v_cndmask_b32_e64 v8, 1.0, v4, s[0:1]
	s_brev_b32 s24, -2
	v_mov_b32_e32 v10, 0x7fc00000
	v_bfi_b32 v6, s24, v6, v8
	v_cmp_neq_f32_e64 s[2:3], v5, |v5|
	v_cmp_lt_f32_e64 s[28:29], |v4|, 1.0
	v_cndmask_b32_e32 v8, v10, v6, vcc
	v_cmp_gt_f32_e32 vcc, 0, v4
	s_xor_b64 s[2:3], s[2:3], s[28:29]
	v_cndmask_b32_e32 v6, v6, v8, vcc
	v_cndmask_b32_e64 v8, v9, 0, s[2:3]
	v_cmp_neq_f32_e64 vcc, |v4|, 1.0
	v_cndmask_b32_e32 v8, 1.0, v8, vcc
	v_cmp_class_f32_e64 vcc, v5, s11
	v_cndmask_b32_e32 v6, v6, v8, vcc
	v_cmp_eq_f32_e32 vcc, 0, v4
	v_cmp_gt_f32_e64 s[2:3], 0, v5
	s_xor_b64 s[2:3], s[2:3], vcc
	s_waitcnt vmcnt(0)
	v_cvt_f32_i32_e32 v7, v7
	v_cmp_class_f32_e64 s[28:29], v4, s11
	v_cndmask_b32_e64 v5, v9, 0, s[2:3]
	v_cndmask_b32_e64 v8, 0, v4, s[0:1]
	v_bfi_b32 v5, s24, v5, v8
	s_or_b64 vcc, vcc, s[28:29]
	v_cndmask_b32_e32 v5, v6, v5, vcc
	v_cmp_o_f32_e32 vcc, v4, v4
	v_cndmask_b32_e32 v4, v10, v5, vcc
	v_mul_f32_e32 v5, v4, v7
.LBB27_25:
	s_or_b64 exec, exec, s[20:21]
                                        ; implicit-def: $vgpr4
                                        ; implicit-def: $vgpr6
.LBB27_26:
	s_andn2_saveexec_b64 s[20:21], s[22:23]
	s_cbranch_execz .LBB27_28
; %bb.27:
	v_lshl_add_u32 v4, s10, 1, v4
	v_mov_b32_e32 v5, 0
	v_lshlrev_b64 v[4:5], 2, v[4:5]
	v_mov_b32_e32 v7, s27
	v_add_co_u32_e32 v4, vcc, s26, v4
	v_addc_co_u32_e32 v5, vcc, v7, v5, vcc
	global_load_dword v7, v[4:5], off
	v_cvt_f32_i32_e32 v4, v6
	v_cmp_neq_f32_e64 vcc, s9, 1.0
	v_mov_b32_e32 v6, s9
	s_mov_b32 s0, 0x3f2aaaab
	v_mul_f32_e32 v4, 0.5, v4
	v_cndmask_b32_e32 v5, 1.0, v4, vcc
	v_cmp_neq_f32_e32 vcc, 0, v5
	v_cndmask_b32_e32 v4, 1.0, v6, vcc
	v_frexp_mant_f32_e64 v6, |v4|
	v_cmp_gt_f32_e32 vcc, s0, v6
	v_cndmask_b32_e64 v12, 1.0, 2.0, vcc
	v_mul_f32_e32 v6, v6, v12
	v_add_f32_e32 v13, 1.0, v6
	v_cvt_f64_f32_e64 v[8:9], |v4|
	v_rcp_f32_e32 v14, v13
	v_add_f32_e32 v12, -1.0, v6
	v_add_f32_e32 v15, -1.0, v13
	v_frexp_exp_i32_f64_e32 v8, v[8:9]
	v_mul_f32_e32 v9, v12, v14
	v_sub_f32_e32 v6, v6, v15
	v_mul_f32_e32 v15, v13, v9
	v_fma_f32 v13, v9, v13, -v15
	v_fmac_f32_e32 v13, v9, v6
	v_add_f32_e32 v6, v15, v13
	v_sub_f32_e32 v16, v12, v6
	v_sub_f32_e32 v15, v6, v15
	;; [unrolled: 1-line block ×5, first 2 shown]
	v_add_f32_e32 v6, v13, v6
	v_add_f32_e32 v6, v16, v6
	v_mul_f32_e32 v6, v14, v6
	v_add_f32_e32 v12, v9, v6
	v_sub_f32_e32 v9, v12, v9
	v_mul_f32_e32 v13, v12, v12
	v_sub_f32_e32 v6, v6, v9
	v_fma_f32 v9, v12, v12, -v13
	v_add_f32_e32 v14, v6, v6
	v_fmac_f32_e32 v9, v12, v14
	v_mov_b32_e32 v10, 0x3e91f4c4
	v_add_f32_e32 v14, v13, v9
	v_mov_b32_e32 v11, 0x3ecccdef
	v_fmac_f32_e32 v10, 0x3e76c4e1, v14
	v_mul_f32_e32 v15, v12, v14
	v_sub_f32_e32 v13, v14, v13
	v_fmac_f32_e32 v11, v14, v10
	v_fma_f32 v10, v14, v12, -v15
	v_sub_f32_e32 v9, v9, v13
	v_fmac_f32_e32 v10, v14, v6
	v_mul_f32_e32 v13, v14, v11
	v_fmac_f32_e32 v10, v9, v12
	v_fma_f32 v14, v14, v11, -v13
	v_add_f32_e32 v16, v15, v10
	v_fmac_f32_e32 v14, v9, v11
	v_sub_f32_e32 v9, v16, v15
	v_add_f32_e32 v11, v13, v14
	v_sub_f32_e32 v9, v10, v9
	v_add_f32_e32 v10, 0x3f2aaaaa, v11
	v_sub_f32_e32 v13, v11, v13
	v_sub_f32_e32 v13, v14, v13
	v_add_f32_e32 v14, 0xbf2aaaaa, v10
	v_add_f32_e32 v13, 0x31739010, v13
	v_sub_f32_e32 v11, v11, v14
	v_subbrev_co_u32_e32 v8, vcc, 0, v8, vcc
	v_add_f32_e32 v11, v13, v11
	v_cvt_f32_i32_e32 v8, v8
	v_add_f32_e32 v13, v10, v11
	v_sub_f32_e32 v10, v10, v13
	v_mul_f32_e32 v14, v16, v13
	v_add_f32_e32 v10, v11, v10
	v_fma_f32 v11, v16, v13, -v14
	v_fmac_f32_e32 v11, v16, v10
	s_mov_b32 s1, 0x3f317218
	v_fmac_f32_e32 v11, v9, v13
	v_mul_f32_e32 v9, 0x3f317218, v8
	v_fma_f32 v10, v8, s1, -v9
	v_fmac_f32_e32 v10, 0xb102e308, v8
	v_ldexp_f32 v8, v12, 1
	v_add_f32_e32 v12, v9, v10
	v_sub_f32_e32 v9, v12, v9
	v_sub_f32_e32 v9, v10, v9
	v_add_f32_e32 v10, v14, v11
	v_sub_f32_e32 v13, v10, v14
	v_sub_f32_e32 v11, v11, v13
	v_add_f32_e32 v13, v8, v10
	v_ldexp_f32 v6, v6, 1
	v_sub_f32_e32 v8, v13, v8
	v_sub_f32_e32 v8, v10, v8
	v_add_f32_e32 v6, v6, v11
	v_add_f32_e32 v6, v6, v8
	v_add_f32_e32 v8, v13, v6
	v_sub_f32_e32 v10, v8, v13
	v_sub_f32_e32 v6, v6, v10
	v_add_f32_e32 v10, v12, v8
	v_sub_f32_e32 v11, v10, v12
	v_sub_f32_e32 v13, v10, v11
	;; [unrolled: 1-line block ×4, first 2 shown]
	v_add_f32_e32 v11, v9, v6
	v_add_f32_e32 v8, v8, v12
	v_sub_f32_e32 v12, v11, v9
	v_sub_f32_e32 v13, v11, v12
	;; [unrolled: 1-line block ×4, first 2 shown]
	v_add_f32_e32 v8, v11, v8
	v_add_f32_e32 v6, v6, v9
	;; [unrolled: 1-line block ×3, first 2 shown]
	v_sub_f32_e32 v10, v9, v10
	v_sub_f32_e32 v8, v8, v10
	v_add_f32_e32 v6, v6, v8
	v_add_f32_e32 v8, v9, v6
	v_sub_f32_e32 v9, v8, v9
	v_sub_f32_e32 v6, v6, v9
	v_mul_f32_e32 v9, v5, v8
	v_fma_f32 v8, v5, v8, -v9
	v_fmac_f32_e32 v8, v5, v6
	s_movk_i32 s11, 0x204
	v_add_f32_e32 v6, v9, v8
	v_cmp_class_f32_e64 vcc, v9, s11
	v_sub_f32_e32 v10, v6, v9
	v_cndmask_b32_e32 v6, v6, v9, vcc
	s_mov_b32 s1, 0x42b17218
	v_mov_b32_e32 v9, 0x37000000
	v_cmp_eq_f32_e32 vcc, s1, v6
	v_cndmask_b32_e32 v9, 0, v9, vcc
	v_sub_f32_e32 v8, v8, v10
	v_sub_f32_e32 v10, v6, v9
	s_mov_b32 s2, 0x3fb8aa3b
	v_mul_f32_e32 v11, 0x3fb8aa3b, v10
	v_fma_f32 v12, v10, s2, -v11
	v_rndne_f32_e32 v13, v11
	v_fmac_f32_e32 v12, 0x32a5705f, v10
	v_sub_f32_e32 v11, v11, v13
	v_add_f32_e32 v11, v11, v12
	v_exp_f32_e32 v11, v11
	v_cvt_i32_f32_e32 v12, v13
	s_mov_b32 s0, 0x7f800000
	v_cmp_neq_f32_e64 vcc, |v6|, s0
	s_mov_b32 s0, 0xc2ce8ed0
	v_cndmask_b32_e32 v6, 0, v8, vcc
	v_ldexp_f32 v8, v11, v12
	v_cmp_ngt_f32_e32 vcc, s0, v10
	v_add_f32_e32 v6, v9, v6
	v_cndmask_b32_e32 v8, 0, v8, vcc
	v_mov_b32_e32 v9, 0x7f800000
	v_cmp_nlt_f32_e32 vcc, s1, v10
	v_cndmask_b32_e32 v8, v9, v8, vcc
	v_fma_f32 v6, v8, v6, v8
	v_cmp_class_f32_e64 vcc, v8, s11
	v_cndmask_b32_e32 v6, v6, v8, vcc
	v_trunc_f32_e32 v8, v5
	v_cmp_eq_f32_e32 vcc, v8, v5
	v_mul_f32_e32 v8, 0.5, v5
	v_trunc_f32_e32 v11, v8
	v_cmp_neq_f32_e64 s[0:1], v11, v8
	s_and_b64 s[0:1], vcc, s[0:1]
	v_cndmask_b32_e64 v8, 1.0, v4, s[0:1]
	s_brev_b32 s24, -2
	v_mov_b32_e32 v10, 0x7fc00000
	v_bfi_b32 v6, s24, v6, v8
	v_cmp_neq_f32_e64 s[2:3], v5, |v5|
	v_cmp_lt_f32_e64 s[22:23], |v4|, 1.0
	v_cndmask_b32_e32 v8, v10, v6, vcc
	v_cmp_gt_f32_e32 vcc, 0, v4
	s_xor_b64 s[2:3], s[2:3], s[22:23]
	v_cndmask_b32_e32 v6, v6, v8, vcc
	v_cndmask_b32_e64 v8, v9, 0, s[2:3]
	v_cmp_neq_f32_e64 vcc, |v4|, 1.0
	v_cndmask_b32_e32 v8, 1.0, v8, vcc
	v_cmp_class_f32_e64 vcc, v5, s11
	v_cndmask_b32_e32 v6, v6, v8, vcc
	v_cmp_eq_f32_e32 vcc, 0, v4
	v_cmp_gt_f32_e64 s[2:3], 0, v5
	s_xor_b64 s[2:3], s[2:3], vcc
	s_waitcnt vmcnt(0)
	v_cvt_f32_i32_e32 v7, v7
	v_cmp_class_f32_e64 s[22:23], v4, s11
	v_cndmask_b32_e64 v5, v9, 0, s[2:3]
	v_cndmask_b32_e64 v8, 0, v4, s[0:1]
	v_bfi_b32 v5, s24, v5, v8
	s_or_b64 vcc, vcc, s[22:23]
	v_cndmask_b32_e32 v5, v6, v5, vcc
	v_cmp_o_f32_e32 vcc, v4, v4
	v_cndmask_b32_e32 v4, v10, v5, vcc
	v_mul_f32_e32 v5, v4, v7
.LBB27_28:
	s_or_b64 exec, exec, s[20:21]
                                        ; implicit-def: $vgpr4
                                        ; implicit-def: $vgpr6
.LBB27_29:
	s_andn2_saveexec_b64 s[6:7], s[6:7]
	s_cbranch_execz .LBB27_31
; %bb.30:
	v_add_u32_e32 v4, s10, v4
	v_mov_b32_e32 v5, 0
	v_lshlrev_b64 v[4:5], 2, v[4:5]
	v_mov_b32_e32 v7, s27
	v_add_co_u32_e32 v4, vcc, s26, v4
	v_addc_co_u32_e32 v5, vcc, v7, v5, vcc
	global_load_dword v7, v[4:5], off
	v_cvt_f32_i32_e32 v4, v6
	v_cmp_neq_f32_e64 vcc, s9, 1.0
	v_mov_b32_e32 v6, s9
	s_mov_b32 s0, 0x3f2aaaab
	v_mul_f32_e32 v4, 0.5, v4
	v_cndmask_b32_e32 v5, 1.0, v4, vcc
	v_cmp_neq_f32_e32 vcc, 0, v5
	v_cndmask_b32_e32 v4, 1.0, v6, vcc
	v_frexp_mant_f32_e64 v6, |v4|
	v_cmp_gt_f32_e32 vcc, s0, v6
	v_cndmask_b32_e64 v12, 1.0, 2.0, vcc
	v_mul_f32_e32 v6, v6, v12
	v_add_f32_e32 v13, 1.0, v6
	v_cvt_f64_f32_e64 v[8:9], |v4|
	v_rcp_f32_e32 v14, v13
	v_add_f32_e32 v12, -1.0, v6
	v_add_f32_e32 v15, -1.0, v13
	v_frexp_exp_i32_f64_e32 v8, v[8:9]
	v_mul_f32_e32 v9, v12, v14
	v_sub_f32_e32 v6, v6, v15
	v_mul_f32_e32 v15, v13, v9
	v_fma_f32 v13, v9, v13, -v15
	v_fmac_f32_e32 v13, v9, v6
	v_add_f32_e32 v6, v15, v13
	v_sub_f32_e32 v16, v12, v6
	v_sub_f32_e32 v15, v6, v15
	;; [unrolled: 1-line block ×5, first 2 shown]
	v_add_f32_e32 v6, v13, v6
	v_add_f32_e32 v6, v16, v6
	v_mul_f32_e32 v6, v14, v6
	v_add_f32_e32 v12, v9, v6
	v_sub_f32_e32 v9, v12, v9
	v_mul_f32_e32 v13, v12, v12
	v_sub_f32_e32 v6, v6, v9
	v_fma_f32 v9, v12, v12, -v13
	v_add_f32_e32 v14, v6, v6
	v_fmac_f32_e32 v9, v12, v14
	v_mov_b32_e32 v10, 0x3e91f4c4
	v_add_f32_e32 v14, v13, v9
	v_mov_b32_e32 v11, 0x3ecccdef
	v_fmac_f32_e32 v10, 0x3e76c4e1, v14
	v_mul_f32_e32 v15, v12, v14
	v_sub_f32_e32 v13, v14, v13
	v_fmac_f32_e32 v11, v14, v10
	v_fma_f32 v10, v14, v12, -v15
	v_sub_f32_e32 v9, v9, v13
	v_fmac_f32_e32 v10, v14, v6
	v_mul_f32_e32 v13, v14, v11
	v_fmac_f32_e32 v10, v9, v12
	v_fma_f32 v14, v14, v11, -v13
	v_add_f32_e32 v16, v15, v10
	v_fmac_f32_e32 v14, v9, v11
	v_sub_f32_e32 v9, v16, v15
	v_add_f32_e32 v11, v13, v14
	v_sub_f32_e32 v9, v10, v9
	v_add_f32_e32 v10, 0x3f2aaaaa, v11
	v_sub_f32_e32 v13, v11, v13
	v_sub_f32_e32 v13, v14, v13
	v_add_f32_e32 v14, 0xbf2aaaaa, v10
	v_add_f32_e32 v13, 0x31739010, v13
	v_sub_f32_e32 v11, v11, v14
	v_subbrev_co_u32_e32 v8, vcc, 0, v8, vcc
	v_add_f32_e32 v11, v13, v11
	v_cvt_f32_i32_e32 v8, v8
	v_add_f32_e32 v13, v10, v11
	v_sub_f32_e32 v10, v10, v13
	v_mul_f32_e32 v14, v16, v13
	v_add_f32_e32 v10, v11, v10
	v_fma_f32 v11, v16, v13, -v14
	v_fmac_f32_e32 v11, v16, v10
	s_mov_b32 s1, 0x3f317218
	v_fmac_f32_e32 v11, v9, v13
	v_mul_f32_e32 v9, 0x3f317218, v8
	v_fma_f32 v10, v8, s1, -v9
	v_fmac_f32_e32 v10, 0xb102e308, v8
	v_ldexp_f32 v8, v12, 1
	v_add_f32_e32 v12, v9, v10
	v_sub_f32_e32 v9, v12, v9
	v_sub_f32_e32 v9, v10, v9
	v_add_f32_e32 v10, v14, v11
	v_sub_f32_e32 v13, v10, v14
	v_sub_f32_e32 v11, v11, v13
	v_add_f32_e32 v13, v8, v10
	v_ldexp_f32 v6, v6, 1
	v_sub_f32_e32 v8, v13, v8
	v_sub_f32_e32 v8, v10, v8
	v_add_f32_e32 v6, v6, v11
	v_add_f32_e32 v6, v6, v8
	;; [unrolled: 1-line block ×3, first 2 shown]
	v_sub_f32_e32 v10, v8, v13
	v_sub_f32_e32 v6, v6, v10
	v_add_f32_e32 v10, v12, v8
	v_sub_f32_e32 v11, v10, v12
	v_sub_f32_e32 v13, v10, v11
	;; [unrolled: 1-line block ×4, first 2 shown]
	v_add_f32_e32 v11, v9, v6
	v_add_f32_e32 v8, v8, v12
	v_sub_f32_e32 v12, v11, v9
	v_sub_f32_e32 v13, v11, v12
	;; [unrolled: 1-line block ×4, first 2 shown]
	v_add_f32_e32 v8, v11, v8
	v_add_f32_e32 v6, v6, v9
	v_add_f32_e32 v9, v10, v8
	v_sub_f32_e32 v10, v9, v10
	v_sub_f32_e32 v8, v8, v10
	v_add_f32_e32 v6, v6, v8
	v_add_f32_e32 v8, v9, v6
	v_sub_f32_e32 v9, v8, v9
	v_sub_f32_e32 v6, v6, v9
	v_mul_f32_e32 v9, v5, v8
	v_fma_f32 v8, v5, v8, -v9
	v_fmac_f32_e32 v8, v5, v6
	s_movk_i32 s9, 0x204
	v_add_f32_e32 v6, v9, v8
	v_cmp_class_f32_e64 vcc, v9, s9
	v_sub_f32_e32 v10, v6, v9
	v_cndmask_b32_e32 v6, v6, v9, vcc
	s_mov_b32 s1, 0x42b17218
	v_mov_b32_e32 v9, 0x37000000
	v_cmp_eq_f32_e32 vcc, s1, v6
	v_cndmask_b32_e32 v9, 0, v9, vcc
	v_sub_f32_e32 v8, v8, v10
	v_sub_f32_e32 v10, v6, v9
	s_mov_b32 s2, 0x3fb8aa3b
	v_mul_f32_e32 v11, 0x3fb8aa3b, v10
	v_fma_f32 v12, v10, s2, -v11
	v_rndne_f32_e32 v13, v11
	v_fmac_f32_e32 v12, 0x32a5705f, v10
	v_sub_f32_e32 v11, v11, v13
	v_add_f32_e32 v11, v11, v12
	v_exp_f32_e32 v11, v11
	v_cvt_i32_f32_e32 v12, v13
	s_mov_b32 s0, 0x7f800000
	v_cmp_neq_f32_e64 vcc, |v6|, s0
	s_mov_b32 s0, 0xc2ce8ed0
	v_cndmask_b32_e32 v6, 0, v8, vcc
	v_ldexp_f32 v8, v11, v12
	v_cmp_ngt_f32_e32 vcc, s0, v10
	v_add_f32_e32 v6, v9, v6
	v_cndmask_b32_e32 v8, 0, v8, vcc
	v_mov_b32_e32 v9, 0x7f800000
	v_cmp_nlt_f32_e32 vcc, s1, v10
	v_cndmask_b32_e32 v8, v9, v8, vcc
	v_fma_f32 v6, v8, v6, v8
	v_cmp_class_f32_e64 vcc, v8, s9
	v_cndmask_b32_e32 v6, v6, v8, vcc
	v_trunc_f32_e32 v8, v5
	v_cmp_eq_f32_e32 vcc, v8, v5
	v_mul_f32_e32 v8, 0.5, v5
	v_trunc_f32_e32 v11, v8
	v_cmp_neq_f32_e64 s[0:1], v11, v8
	s_and_b64 s[0:1], vcc, s[0:1]
	v_cndmask_b32_e64 v8, 1.0, v4, s[0:1]
	s_brev_b32 s20, -2
	v_mov_b32_e32 v10, 0x7fc00000
	v_bfi_b32 v6, s20, v6, v8
	v_cmp_neq_f32_e64 s[2:3], v5, |v5|
	v_cmp_lt_f32_e64 s[10:11], |v4|, 1.0
	v_cndmask_b32_e32 v8, v10, v6, vcc
	v_cmp_gt_f32_e32 vcc, 0, v4
	s_xor_b64 s[2:3], s[2:3], s[10:11]
	v_cndmask_b32_e32 v6, v6, v8, vcc
	v_cndmask_b32_e64 v8, v9, 0, s[2:3]
	v_cmp_neq_f32_e64 vcc, |v4|, 1.0
	v_cndmask_b32_e32 v8, 1.0, v8, vcc
	v_cmp_class_f32_e64 vcc, v5, s9
	v_cndmask_b32_e32 v6, v6, v8, vcc
	v_cmp_eq_f32_e32 vcc, 0, v4
	v_cmp_gt_f32_e64 s[2:3], 0, v5
	s_xor_b64 s[2:3], s[2:3], vcc
	s_waitcnt vmcnt(0)
	v_cvt_f32_i32_e32 v7, v7
	v_cmp_class_f32_e64 s[10:11], v4, s9
	v_cndmask_b32_e64 v5, v9, 0, s[2:3]
	v_cndmask_b32_e64 v8, 0, v4, s[0:1]
	v_bfi_b32 v5, s20, v5, v8
	s_or_b64 vcc, vcc, s[10:11]
	v_cndmask_b32_e32 v5, v6, v5, vcc
	v_cmp_o_f32_e32 vcc, v4, v4
	v_cndmask_b32_e32 v4, v10, v5, vcc
	v_mul_f32_e32 v5, v4, v7
.LBB27_31:
	s_or_b64 exec, exec, s[6:7]
.LBB27_32:
	s_load_dwordx2 s[0:1], s[4:5], 0x58
	v_lshlrev_b64 v[3:4], 2, v[2:3]
	s_waitcnt lgkmcnt(0)
	v_mov_b32_e32 v6, s1
	v_add_co_u32_e32 v3, vcc, s0, v3
	v_addc_co_u32_e32 v4, vcc, v6, v4, vcc
	global_load_dword v3, v[3:4], off
	s_waitcnt vmcnt(0)
	v_div_scale_f32 v4, s[0:1], v3, v3, v5
	v_div_scale_f32 v6, vcc, v5, v3, v5
	v_cmp_eq_f32_e64 s[0:1], s13, 0
	v_rcp_f32_e32 v7, v4
	v_fma_f32 v8, -v4, v7, 1.0
	v_fmac_f32_e32 v7, v8, v7
	v_mul_f32_e32 v8, v6, v7
	v_fma_f32 v9, -v4, v8, v6
	v_fmac_f32_e32 v8, v9, v7
	v_fma_f32 v4, -v4, v8, v6
	v_div_fmas_f32 v6, v4, v7, v8
	s_and_b64 vcc, exec, s[0:1]
	v_div_fixup_f32 v5, v6, v3, v5
	v_mul_f32_e32 v3, s12, v5
	s_cbranch_vccnz .LBB27_34
; %bb.33:
	v_cvt_f32_i32_e32 v2, v2
	v_div_scale_f32 v6, s[0:1], s12, s12, 1.0
	v_mov_b32_e32 v4, s15
	v_sub_f32_e32 v4, s8, v4
	v_subrev_f32_e32 v2, s15, v2
	v_max_f32_e32 v4, 0x3a83126f, v4
	v_div_scale_f32 v7, s[0:1], v4, v4, v2
	v_div_scale_f32 v8, s[0:1], 1.0, s12, 1.0
	v_div_scale_f32 v9, vcc, v2, v4, v2
	s_mov_b32 s2, 0x3f317217
	s_mov_b32 s3, 0x7f800000
	v_rcp_f32_e32 v10, v6
	v_fma_f32 v11, -v6, v10, 1.0
	v_fmac_f32_e32 v10, v11, v10
	v_rcp_f32_e32 v12, v7
	v_mul_f32_e32 v11, v8, v10
	v_fma_f32 v13, -v6, v11, v8
	v_fmac_f32_e32 v11, v13, v10
	v_fma_f32 v13, -v7, v12, 1.0
	v_fmac_f32_e32 v12, v13, v12
	v_fma_f32 v6, -v6, v11, v8
	v_mul_f32_e32 v8, v9, v12
	v_fma_f32 v13, -v7, v8, v9
	v_fmac_f32_e32 v8, v13, v12
	v_fma_f32 v7, -v7, v8, v9
	v_div_fmas_f32 v7, v7, v12, v8
	s_mov_b64 vcc, s[0:1]
	v_div_fmas_f32 v6, v6, v10, v11
	s_mov_b32 s0, 0x800000
	v_mov_b32_e32 v8, 0x41b17218
	v_div_fixup_f32 v2, v7, v4, v2 clamp
	v_sub_f32_e32 v2, 1.0, v2
	v_div_fixup_f32 v4, v6, s12, 1.0
	v_cmp_gt_f32_e32 vcc, s0, v4
	s_and_b64 s[0:1], vcc, exec
	s_cselect_b32 s0, 32, 0
	v_ldexp_f32 v4, v4, s0
	v_log_f32_e32 v4, v4
	v_mul_f32_e32 v6, s13, v2
	v_fma_f32 v2, -s13, v2, 1.0
	v_mul_f32_e32 v3, v2, v3
	v_mul_f32_e32 v2, 0x3f317217, v4
	v_fma_f32 v2, v4, s2, -v2
	v_fmac_f32_e32 v2, 0x3377d1cf, v4
	v_cndmask_b32_e32 v7, 0, v8, vcc
	v_fmac_f32_e32 v2, 0x3f317217, v4
	v_cmp_lt_f32_e64 vcc, |v4|, s3
	v_cndmask_b32_e32 v2, v4, v2, vcc
	v_sub_f32_e32 v2, v2, v7
	s_mov_b32 s0, 0x3dcccccd
	v_fma_f32 v2, v2, s0, 1.0
	v_fmac_f32_e32 v3, v6, v5
	v_mul_f32_e32 v4, s14, v2
	s_branch .LBB27_35
.LBB27_34:
	v_mov_b32_e32 v4, s14
.LBB27_35:
	v_and_b32_e32 v5, 0x7fffffff, v3
	s_brev_b32 s0, 18
	v_cmp_nlt_f32_e64 s[6:7], |v3|, s0
	v_lshrrev_b32_e32 v2, 23, v5
                                        ; implicit-def: $vgpr7
                                        ; implicit-def: $vgpr6
	s_and_saveexec_b64 s[0:1], s[6:7]
	s_xor_b64 s[8:9], exec, s[0:1]
	s_cbranch_execz .LBB27_37
; %bb.36:
	v_and_b32_e32 v6, 0x7fffff, v5
	v_or_b32_e32 v15, 0x800000, v6
	s_mov_b32 s0, 0xfe5163ab
	v_mad_u64_u32 v[6:7], s[0:1], v15, s0, 0
	v_mov_b32_e32 v8, 0
	s_mov_b32 s0, 0x3c439041
	v_mad_u64_u32 v[9:10], s[0:1], v15, s0, v[7:8]
	s_mov_b32 s0, 0xdb629599
	v_add_u32_e32 v14, 0xffffff88, v2
	v_mov_b32_e32 v7, v10
	v_mad_u64_u32 v[10:11], s[0:1], v15, s0, v[7:8]
	s_mov_b32 s0, 0xf534ddc0
	v_not_b32_e32 v16, 63
	v_mov_b32_e32 v7, v11
	v_mad_u64_u32 v[11:12], s[0:1], v15, s0, v[7:8]
	s_mov_b32 s0, 0xfc2757d1
	v_cmp_lt_u32_e32 vcc, 63, v14
	v_mov_b32_e32 v7, v12
	v_mad_u64_u32 v[12:13], s[0:1], v15, s0, v[7:8]
	v_cndmask_b32_e32 v7, 0, v16, vcc
	v_add_u32_e32 v16, v7, v14
	v_mov_b32_e32 v7, v13
	s_mov_b32 s0, 0x4e441529
	v_mad_u64_u32 v[13:14], s[0:1], v15, s0, v[7:8]
	v_not_b32_e32 v17, 31
	v_cmp_lt_u32_e64 s[0:1], 31, v16
	v_cndmask_b32_e64 v7, 0, v17, s[0:1]
	v_add_u32_e32 v16, v7, v16
	v_mov_b32_e32 v7, v14
	s_mov_b32 s2, 0xa2f9836e
	v_mad_u64_u32 v[7:8], s[2:3], v15, s2, v[7:8]
	v_cmp_lt_u32_e64 s[2:3], 31, v16
	v_cndmask_b32_e64 v14, 0, v17, s[2:3]
	v_cndmask_b32_e32 v15, v13, v11, vcc
	v_cndmask_b32_e32 v7, v7, v12, vcc
	;; [unrolled: 1-line block ×3, first 2 shown]
	v_add_u32_e32 v14, v14, v16
	v_cndmask_b32_e64 v16, v7, v15, s[0:1]
	v_cndmask_b32_e64 v7, v8, v7, s[0:1]
	v_cndmask_b32_e32 v8, v12, v10, vcc
	v_cndmask_b32_e64 v12, v15, v8, s[0:1]
	v_cndmask_b32_e32 v9, v11, v9, vcc
	v_cndmask_b32_e64 v7, v7, v16, s[2:3]
	v_cndmask_b32_e64 v13, v16, v12, s[2:3]
	v_sub_u32_e32 v15, 32, v14
	v_cndmask_b32_e64 v8, v8, v9, s[0:1]
	v_alignbit_b32 v16, v7, v13, v15
	v_cmp_eq_u32_e64 s[4:5], 0, v14
	v_cndmask_b32_e64 v11, v12, v8, s[2:3]
	v_cndmask_b32_e64 v7, v16, v7, s[4:5]
	v_alignbit_b32 v12, v13, v11, v15
	v_cndmask_b32_e32 v6, v10, v6, vcc
	v_cndmask_b32_e64 v12, v12, v13, s[4:5]
	v_bfe_u32 v16, v7, 29, 1
	v_cndmask_b32_e64 v6, v9, v6, s[0:1]
	v_alignbit_b32 v13, v7, v12, 30
	v_sub_u32_e32 v17, 0, v16
	v_cndmask_b32_e64 v6, v8, v6, s[2:3]
	v_xor_b32_e32 v13, v13, v17
	v_alignbit_b32 v8, v11, v6, v15
	v_cndmask_b32_e64 v8, v8, v11, s[4:5]
	v_ffbh_u32_e32 v10, v13
	v_alignbit_b32 v9, v12, v8, 30
	v_min_u32_e32 v10, 32, v10
	v_alignbit_b32 v6, v8, v6, 30
	v_xor_b32_e32 v9, v9, v17
	v_sub_u32_e32 v11, 31, v10
	v_xor_b32_e32 v6, v6, v17
	v_alignbit_b32 v12, v13, v9, v11
	v_alignbit_b32 v6, v9, v6, v11
	;; [unrolled: 1-line block ×3, first 2 shown]
	v_ffbh_u32_e32 v9, v8
	v_min_u32_e32 v9, 32, v9
	v_lshrrev_b32_e32 v14, 29, v7
	v_not_b32_e32 v11, v9
	v_alignbit_b32 v6, v8, v6, v11
	v_lshlrev_b32_e32 v8, 31, v14
	v_or_b32_e32 v11, 0x33000000, v8
	v_add_lshl_u32 v9, v9, v10, 23
	v_lshrrev_b32_e32 v6, 9, v6
	v_sub_u32_e32 v9, v11, v9
	v_or_b32_e32 v8, 0.5, v8
	v_lshlrev_b32_e32 v10, 23, v10
	v_or_b32_e32 v6, v9, v6
	v_lshrrev_b32_e32 v9, 9, v12
	v_sub_u32_e32 v8, v8, v10
	v_or_b32_e32 v8, v9, v8
	s_mov_b32 s0, 0x3fc90fda
	v_mul_f32_e32 v9, 0x3fc90fda, v8
	v_fma_f32 v10, v8, s0, -v9
	v_fmac_f32_e32 v10, 0x33a22168, v8
	v_fmac_f32_e32 v10, 0x3fc90fda, v6
	v_lshrrev_b32_e32 v7, 30, v7
	v_add_f32_e32 v6, v9, v10
	v_add_u32_e32 v7, v16, v7
	s_andn2_saveexec_b64 s[0:1], s[8:9]
	s_cbranch_execz .LBB27_39
	s_branch .LBB27_38
.LBB27_37:
	s_andn2_saveexec_b64 s[0:1], s[8:9]
	s_cbranch_execz .LBB27_39
.LBB27_38:
	s_mov_b32 s2, 0x3f22f983
	v_mul_f32_e64 v6, |v3|, s2
	v_rndne_f32_e32 v8, v6
	s_mov_b32 s2, 0xbfc90fda
	v_cvt_i32_f32_e32 v7, v8
	v_fma_f32 v6, v8, s2, |v3|
	v_fmac_f32_e32 v6, 0xb3a22168, v8
	v_fmac_f32_e32 v6, 0xa7c234c4, v8
.LBB27_39:
	s_or_b64 exec, exec, s[0:1]
                                        ; implicit-def: $vgpr9
                                        ; implicit-def: $vgpr8
	s_and_saveexec_b64 s[0:1], s[6:7]
	s_xor_b64 s[6:7], exec, s[0:1]
	s_cbranch_execz .LBB27_41
; %bb.40:
	v_and_b32_e32 v8, 0x7fffff, v5
	v_or_b32_e32 v17, 0x800000, v8
	s_mov_b32 s0, 0xfe5163ab
	v_mad_u64_u32 v[8:9], s[0:1], v17, s0, 0
	v_mov_b32_e32 v10, 0
	s_mov_b32 s0, 0x3c439041
	v_mad_u64_u32 v[11:12], s[0:1], v17, s0, v[9:10]
	s_mov_b32 s0, 0xdb629599
	v_add_u32_e32 v2, 0xffffff88, v2
	v_mov_b32_e32 v9, v12
	v_mad_u64_u32 v[12:13], s[0:1], v17, s0, v[9:10]
	s_mov_b32 s0, 0xf534ddc0
	v_not_b32_e32 v16, 63
	v_mov_b32_e32 v9, v13
	v_mad_u64_u32 v[13:14], s[0:1], v17, s0, v[9:10]
	s_mov_b32 s0, 0xfc2757d1
	v_cmp_lt_u32_e32 vcc, 63, v2
	v_mov_b32_e32 v9, v14
	v_mad_u64_u32 v[14:15], s[0:1], v17, s0, v[9:10]
	v_cndmask_b32_e32 v9, 0, v16, vcc
	v_add_u32_e32 v2, v9, v2
	v_mov_b32_e32 v9, v15
	s_mov_b32 s0, 0x4e441529
	v_mad_u64_u32 v[15:16], s[0:1], v17, s0, v[9:10]
	v_not_b32_e32 v18, 31
	v_cmp_lt_u32_e64 s[0:1], 31, v2
	v_cndmask_b32_e64 v9, 0, v18, s[0:1]
	v_add_u32_e32 v2, v9, v2
	v_mov_b32_e32 v9, v16
	s_mov_b32 s2, 0xa2f9836e
	v_mad_u64_u32 v[9:10], s[2:3], v17, s2, v[9:10]
	v_cmp_lt_u32_e64 s[2:3], 31, v2
	v_cndmask_b32_e64 v16, 0, v18, s[2:3]
	v_add_u32_e32 v2, v16, v2
	v_cndmask_b32_e32 v16, v15, v13, vcc
	v_cndmask_b32_e32 v9, v9, v14, vcc
	v_cndmask_b32_e32 v10, v10, v15, vcc
	v_cndmask_b32_e64 v17, v9, v16, s[0:1]
	v_cndmask_b32_e64 v9, v10, v9, s[0:1]
	v_cndmask_b32_e32 v10, v14, v12, vcc
	v_cndmask_b32_e64 v14, v16, v10, s[0:1]
	v_cndmask_b32_e64 v9, v9, v17, s[2:3]
	;; [unrolled: 1-line block ×3, first 2 shown]
	v_sub_u32_e32 v16, 32, v2
	v_alignbit_b32 v17, v9, v15, v16
	v_cmp_eq_u32_e64 s[4:5], 0, v2
	v_cndmask_b32_e64 v2, v17, v9, s[4:5]
	v_cndmask_b32_e32 v9, v13, v11, vcc
	v_cndmask_b32_e64 v10, v10, v9, s[0:1]
	v_cndmask_b32_e64 v11, v14, v10, s[2:3]
	v_alignbit_b32 v13, v15, v11, v16
	v_cndmask_b32_e32 v8, v12, v8, vcc
	v_cndmask_b32_e64 v13, v13, v15, s[4:5]
	v_bfe_u32 v17, v2, 29, 1
	v_cndmask_b32_e64 v8, v9, v8, s[0:1]
	v_alignbit_b32 v14, v2, v13, 30
	v_sub_u32_e32 v18, 0, v17
	v_cndmask_b32_e64 v8, v10, v8, s[2:3]
	v_xor_b32_e32 v14, v14, v18
	v_alignbit_b32 v9, v11, v8, v16
	v_cndmask_b32_e64 v9, v9, v11, s[4:5]
	v_ffbh_u32_e32 v11, v14
	v_alignbit_b32 v10, v13, v9, 30
	v_min_u32_e32 v11, 32, v11
	v_alignbit_b32 v8, v9, v8, 30
	v_xor_b32_e32 v10, v10, v18
	v_sub_u32_e32 v12, 31, v11
	v_xor_b32_e32 v8, v8, v18
	v_alignbit_b32 v13, v14, v10, v12
	v_alignbit_b32 v8, v10, v8, v12
	;; [unrolled: 1-line block ×3, first 2 shown]
	v_ffbh_u32_e32 v10, v9
	v_min_u32_e32 v10, 32, v10
	v_lshrrev_b32_e32 v15, 29, v2
	v_not_b32_e32 v12, v10
	v_alignbit_b32 v8, v9, v8, v12
	v_lshlrev_b32_e32 v9, 31, v15
	v_or_b32_e32 v12, 0x33000000, v9
	v_add_lshl_u32 v10, v10, v11, 23
	v_lshrrev_b32_e32 v8, 9, v8
	v_sub_u32_e32 v10, v12, v10
	v_or_b32_e32 v9, 0.5, v9
	v_lshlrev_b32_e32 v11, 23, v11
	v_or_b32_e32 v8, v10, v8
	v_lshrrev_b32_e32 v10, 9, v13
	v_sub_u32_e32 v9, v9, v11
	v_or_b32_e32 v9, v10, v9
	s_mov_b32 s0, 0x3fc90fda
	v_mul_f32_e32 v10, 0x3fc90fda, v9
	v_fma_f32 v11, v9, s0, -v10
	v_fmac_f32_e32 v11, 0x33a22168, v9
	v_fmac_f32_e32 v11, 0x3fc90fda, v8
	v_lshrrev_b32_e32 v2, 30, v2
	v_add_f32_e32 v8, v10, v11
	v_add_u32_e32 v9, v17, v2
	s_andn2_saveexec_b64 s[0:1], s[6:7]
	s_cbranch_execnz .LBB27_42
	s_branch .LBB27_43
.LBB27_41:
	s_andn2_saveexec_b64 s[0:1], s[6:7]
	s_cbranch_execz .LBB27_43
.LBB27_42:
	s_mov_b32 s2, 0x3f22f983
	v_mul_f32_e64 v2, |v3|, s2
	v_rndne_f32_e32 v2, v2
	s_mov_b32 s2, 0xbfc90fda
	v_cvt_i32_f32_e32 v9, v2
	v_fma_f32 v8, v2, s2, |v3|
	v_fmac_f32_e32 v8, 0xb3a22168, v2
	v_fmac_f32_e32 v8, 0xa7c234c4, v2
.LBB27_43:
	s_or_b64 exec, exec, s[0:1]
	v_ashrrev_i32_e32 v2, 31, v1
	s_lshr_b32 s0, s25, 31
	v_lshlrev_b64 v[1:2], 2, v[1:2]
	s_add_i32 s0, s25, s0
	s_ashr_i32 s0, s0, 1
	v_mov_b32_e32 v10, s17
	v_add_co_u32_e32 v1, vcc, s16, v1
	s_ashr_i32 s1, s0, 31
	v_addc_co_u32_e32 v2, vcc, v10, v2, vcc
	s_lshl_b64 s[0:1], s[0:1], 2
	v_mov_b32_e32 v12, s1
	v_add_co_u32_e32 v10, vcc, s0, v1
	v_addc_co_u32_e32 v11, vcc, v2, v12, vcc
	global_load_dword v13, v[1:2], off
	global_load_dword v14, v[10:11], off
	v_ashrrev_i32_e32 v1, 31, v0
	v_lshlrev_b64 v[0:1], 2, v[0:1]
	v_mov_b32_e32 v17, s19
	v_add_co_u32_e32 v0, vcc, s18, v0
	v_mul_f32_e32 v2, v6, v6
	v_mov_b32_e32 v16, 0xbab64f3b
	v_addc_co_u32_e32 v1, vcc, v17, v1, vcc
	v_mov_b32_e32 v17, 0xbab64f3b
	v_mul_f32_e32 v19, v8, v8
	v_mov_b32_e32 v10, 0x3c0881c4
	v_mov_b32_e32 v11, 0x3c0881c4
	;; [unrolled: 1-line block ×3, first 2 shown]
	v_fmac_f32_e32 v17, 0x37d75334, v2
	v_fmac_f32_e32 v16, 0x37d75334, v19
	v_mov_b32_e32 v15, 0xbe2aaa9d
	v_fmac_f32_e32 v11, 0xb94c1982, v2
	v_fmac_f32_e32 v10, 0xb94c1982, v19
	v_fma_f32 v17, v2, v17, v18
	v_fmac_f32_e32 v18, v19, v16
	v_lshlrev_b32_e32 v16, 30, v9
	v_fma_f32 v11, v2, v11, v15
	v_fmac_f32_e32 v15, v19, v10
	v_mov_b32_e32 v10, 0xbf000004
	v_xor_b32_e32 v5, v5, v3
	v_and_b32_e32 v16, 0x80000000, v16
	v_xor_b32_e32 v5, v5, v16
	v_and_b32_e32 v16, 1, v7
	v_fma_f32 v17, v2, v17, v10
	v_mul_f32_e32 v11, v2, v11
	v_fmac_f32_e32 v10, v19, v18
	v_and_b32_e32 v9, 1, v9
	v_mul_f32_e32 v15, v19, v15
	v_fmac_f32_e32 v6, v6, v11
	v_fma_f32 v2, v2, v17, 1.0
	v_cmp_eq_u32_e32 vcc, 0, v16
	v_lshlrev_b32_e32 v7, 30, v7
	v_fmac_f32_e32 v8, v8, v15
	v_fma_f32 v10, v19, v10, 1.0
	v_cndmask_b32_e64 v2, -v6, v2, vcc
	v_cmp_eq_u32_e32 vcc, 0, v9
	v_and_b32_e32 v7, 0x80000000, v7
	v_cndmask_b32_e32 v6, v10, v8, vcc
	v_xor_b32_e32 v2, v7, v2
	v_xor_b32_e32 v7, v5, v6
	v_add_co_u32_e32 v5, vcc, s0, v0
	s_movk_i32 s1, 0x1f8
	v_addc_co_u32_e32 v6, vcc, v1, v12, vcc
	v_mov_b32_e32 v18, 0x7fc00000
	v_cmp_class_f32_e64 vcc, v3, s1
	v_cndmask_b32_e32 v3, v18, v7, vcc
	v_cndmask_b32_e32 v2, v18, v2, vcc
	v_mul_f32_e64 v3, v3, -v4
	v_mul_f32_e32 v2, v4, v2
	s_waitcnt vmcnt(1)
	v_mul_f32_e32 v4, v13, v3
	s_waitcnt vmcnt(0)
	v_mul_f32_e32 v3, v14, v3
	v_fmac_f32_e32 v4, v2, v14
	v_fma_f32 v2, v2, v13, -v3
	global_store_dword v[0:1], v2, off
	global_store_dword v[5:6], v4, off
.LBB27_44:
	s_endpgm
	.section	.rodata,"a",@progbits
	.p2align	6, 0x0
	.amdhsa_kernel _ZL10rope_multiILb0ELb1EfEvPKT1_PS0_iiiiiiiiiiPKifff14rope_corr_dimsfPKf14mrope_sectionsb
		.amdhsa_group_segment_fixed_size 0
		.amdhsa_private_segment_fixed_size 0
		.amdhsa_kernarg_size 376
		.amdhsa_user_sgpr_count 6
		.amdhsa_user_sgpr_private_segment_buffer 1
		.amdhsa_user_sgpr_dispatch_ptr 0
		.amdhsa_user_sgpr_queue_ptr 0
		.amdhsa_user_sgpr_kernarg_segment_ptr 1
		.amdhsa_user_sgpr_dispatch_id 0
		.amdhsa_user_sgpr_flat_scratch_init 0
		.amdhsa_user_sgpr_private_segment_size 0
		.amdhsa_uses_dynamic_stack 0
		.amdhsa_system_sgpr_private_segment_wavefront_offset 0
		.amdhsa_system_sgpr_workgroup_id_x 1
		.amdhsa_system_sgpr_workgroup_id_y 1
		.amdhsa_system_sgpr_workgroup_id_z 0
		.amdhsa_system_sgpr_workgroup_info 0
		.amdhsa_system_vgpr_workitem_id 1
		.amdhsa_next_free_vgpr 21
		.amdhsa_next_free_sgpr 36
		.amdhsa_reserve_vcc 1
		.amdhsa_reserve_flat_scratch 0
		.amdhsa_float_round_mode_32 0
		.amdhsa_float_round_mode_16_64 0
		.amdhsa_float_denorm_mode_32 3
		.amdhsa_float_denorm_mode_16_64 3
		.amdhsa_dx10_clamp 1
		.amdhsa_ieee_mode 1
		.amdhsa_fp16_overflow 0
		.amdhsa_exception_fp_ieee_invalid_op 0
		.amdhsa_exception_fp_denorm_src 0
		.amdhsa_exception_fp_ieee_div_zero 0
		.amdhsa_exception_fp_ieee_overflow 0
		.amdhsa_exception_fp_ieee_underflow 0
		.amdhsa_exception_fp_ieee_inexact 0
		.amdhsa_exception_int_div_zero 0
	.end_amdhsa_kernel
	.section	.text._ZL10rope_multiILb0ELb1EfEvPKT1_PS0_iiiiiiiiiiPKifff14rope_corr_dimsfPKf14mrope_sectionsb,"axG",@progbits,_ZL10rope_multiILb0ELb1EfEvPKT1_PS0_iiiiiiiiiiPKifff14rope_corr_dimsfPKf14mrope_sectionsb,comdat
.Lfunc_end27:
	.size	_ZL10rope_multiILb0ELb1EfEvPKT1_PS0_iiiiiiiiiiPKifff14rope_corr_dimsfPKf14mrope_sectionsb, .Lfunc_end27-_ZL10rope_multiILb0ELb1EfEvPKT1_PS0_iiiiiiiiiiPKifff14rope_corr_dimsfPKf14mrope_sectionsb
                                        ; -- End function
	.set _ZL10rope_multiILb0ELb1EfEvPKT1_PS0_iiiiiiiiiiPKifff14rope_corr_dimsfPKf14mrope_sectionsb.num_vgpr, 21
	.set _ZL10rope_multiILb0ELb1EfEvPKT1_PS0_iiiiiiiiiiPKifff14rope_corr_dimsfPKf14mrope_sectionsb.num_agpr, 0
	.set _ZL10rope_multiILb0ELb1EfEvPKT1_PS0_iiiiiiiiiiPKifff14rope_corr_dimsfPKf14mrope_sectionsb.numbered_sgpr, 36
	.set _ZL10rope_multiILb0ELb1EfEvPKT1_PS0_iiiiiiiiiiPKifff14rope_corr_dimsfPKf14mrope_sectionsb.num_named_barrier, 0
	.set _ZL10rope_multiILb0ELb1EfEvPKT1_PS0_iiiiiiiiiiPKifff14rope_corr_dimsfPKf14mrope_sectionsb.private_seg_size, 0
	.set _ZL10rope_multiILb0ELb1EfEvPKT1_PS0_iiiiiiiiiiPKifff14rope_corr_dimsfPKf14mrope_sectionsb.uses_vcc, 1
	.set _ZL10rope_multiILb0ELb1EfEvPKT1_PS0_iiiiiiiiiiPKifff14rope_corr_dimsfPKf14mrope_sectionsb.uses_flat_scratch, 0
	.set _ZL10rope_multiILb0ELb1EfEvPKT1_PS0_iiiiiiiiiiPKifff14rope_corr_dimsfPKf14mrope_sectionsb.has_dyn_sized_stack, 0
	.set _ZL10rope_multiILb0ELb1EfEvPKT1_PS0_iiiiiiiiiiPKifff14rope_corr_dimsfPKf14mrope_sectionsb.has_recursion, 0
	.set _ZL10rope_multiILb0ELb1EfEvPKT1_PS0_iiiiiiiiiiPKifff14rope_corr_dimsfPKf14mrope_sectionsb.has_indirect_call, 0
	.section	.AMDGPU.csdata,"",@progbits
; Kernel info:
; codeLenInByte = 10272
; TotalNumSgprs: 40
; NumVgprs: 21
; ScratchSize: 0
; MemoryBound: 0
; FloatMode: 240
; IeeeMode: 1
; LDSByteSize: 0 bytes/workgroup (compile time only)
; SGPRBlocks: 4
; VGPRBlocks: 5
; NumSGPRsForWavesPerEU: 40
; NumVGPRsForWavesPerEU: 21
; Occupancy: 10
; WaveLimiterHint : 0
; COMPUTE_PGM_RSRC2:SCRATCH_EN: 0
; COMPUTE_PGM_RSRC2:USER_SGPR: 6
; COMPUTE_PGM_RSRC2:TRAP_HANDLER: 0
; COMPUTE_PGM_RSRC2:TGID_X_EN: 1
; COMPUTE_PGM_RSRC2:TGID_Y_EN: 1
; COMPUTE_PGM_RSRC2:TGID_Z_EN: 0
; COMPUTE_PGM_RSRC2:TIDIG_COMP_CNT: 1
	.section	.text._ZL10rope_multiILb0ELb0E6__halfEvPKT1_PS1_iiiiiiiiiiPKifff14rope_corr_dimsfPKf14mrope_sectionsb,"axG",@progbits,_ZL10rope_multiILb0ELb0E6__halfEvPKT1_PS1_iiiiiiiiiiPKifff14rope_corr_dimsfPKf14mrope_sectionsb,comdat
	.globl	_ZL10rope_multiILb0ELb0E6__halfEvPKT1_PS1_iiiiiiiiiiPKifff14rope_corr_dimsfPKf14mrope_sectionsb ; -- Begin function _ZL10rope_multiILb0ELb0E6__halfEvPKT1_PS1_iiiiiiiiiiPKifff14rope_corr_dimsfPKf14mrope_sectionsb
	.p2align	8
	.type	_ZL10rope_multiILb0ELb0E6__halfEvPKT1_PS1_iiiiiiiiiiPKifff14rope_corr_dimsfPKf14mrope_sectionsb,@function
_ZL10rope_multiILb0ELb0E6__halfEvPKT1_PS1_iiiiiiiiiiPKifff14rope_corr_dimsfPKf14mrope_sectionsb: ; @_ZL10rope_multiILb0ELb0E6__halfEvPKT1_PS1_iiiiiiiiiiPKifff14rope_corr_dimsfPKf14mrope_sectionsb
; %bb.0:
	s_load_dword s2, s[4:5], 0x84
	s_load_dwordx8 s[8:15], s[4:5], 0x10
	s_add_u32 s0, s4, 0x78
	s_addc_u32 s1, s5, 0
	s_waitcnt lgkmcnt(0)
	s_lshr_b32 s2, s2, 16
	s_mul_i32 s7, s7, s2
	v_add_lshl_u32 v5, s7, v1, 1
	v_cmp_gt_i32_e32 vcc, s8, v5
	s_and_saveexec_b64 s[2:3], vcc
	s_cbranch_execz .LBB28_44
; %bb.1:
	s_mul_i32 s2, s10, s9
	s_abs_i32 s3, s2
	v_cvt_f32_u32_e32 v1, s3
	s_load_dword s0, s[0:1], 0xc
	s_sub_i32 s1, 0, s3
	v_cvt_f32_u32_e32 v2, s9
	v_rcp_iflag_f32_e32 v1, v1
	s_waitcnt lgkmcnt(0)
	s_and_b32 s0, s0, 0xffff
	s_mul_i32 s6, s6, s0
	v_mul_f32_e32 v1, 0x4f7ffffe, v1
	v_cvt_u32_f32_e32 v1, v1
	v_add_u32_e32 v0, s6, v0
	v_sub_u32_e32 v4, 0, v0
	v_max_i32_e32 v4, v0, v4
	v_mul_lo_u32 v3, s1, v1
	v_rcp_iflag_f32_e32 v2, v2
	s_sub_i32 s0, 0, s9
	v_xor_b32_e32 v6, s2, v0
	v_mul_hi_u32 v3, v1, v3
	v_mul_f32_e32 v2, 0x4f7ffffe, v2
	v_cvt_u32_f32_e32 v2, v2
	v_ashrrev_i32_e32 v6, 31, v6
	v_add_u32_e32 v1, v1, v3
	v_mul_hi_u32 v1, v4, v1
	v_mul_lo_u32 v3, s0, v2
	s_load_dwordx2 s[6:7], s[4:5], 0x30
	s_load_dwordx4 s[16:19], s[4:5], 0x0
	v_mul_lo_u32 v7, v1, s3
	v_add_u32_e32 v8, 1, v1
	v_mul_hi_u32 v3, v2, v3
	v_sub_u32_e32 v4, v4, v7
	v_cmp_le_u32_e32 vcc, s3, v4
	v_subrev_u32_e32 v7, s3, v4
	v_cndmask_b32_e32 v1, v1, v8, vcc
	v_cndmask_b32_e32 v4, v4, v7, vcc
	v_add_u32_e32 v7, 1, v1
	v_cmp_le_u32_e32 vcc, s3, v4
	v_cndmask_b32_e32 v1, v1, v7, vcc
	v_xor_b32_e32 v1, v1, v6
	v_sub_u32_e32 v4, v1, v6
	v_mul_lo_u32 v1, s2, v4
	v_add_u32_e32 v2, v2, v3
	v_sub_u32_e32 v6, v0, v1
	v_mul_hi_u32 v0, v6, v2
	v_ashrrev_i32_e32 v2, 1, v5
	v_mul_lo_u32 v1, v0, s9
	v_add_u32_e32 v3, 1, v0
	v_sub_u32_e32 v1, v6, v1
	v_cmp_le_u32_e32 vcc, s9, v1
	v_cndmask_b32_e32 v0, v0, v3, vcc
	v_subrev_u32_e32 v3, s9, v1
	v_cndmask_b32_e32 v1, v1, v3, vcc
	v_add_u32_e32 v3, 1, v0
	v_cmp_le_u32_e32 vcc, s9, v1
	v_cndmask_b32_e32 v3, v0, v3, vcc
	v_mul_lo_u32 v7, v3, s9
	s_waitcnt lgkmcnt(0)
	v_mad_u64_u32 v[0:1], s[0:1], v4, s6, v[2:3]
	v_mul_lo_u32 v1, v3, s15
	v_sub_u32_e32 v6, v6, v7
	v_mul_lo_u32 v8, v6, s14
	v_mul_lo_u32 v9, v6, s11
	;; [unrolled: 1-line block ×3, first 2 shown]
	v_mad_u64_u32 v[6:7], s[0:1], v4, s13, v[2:3]
	v_add3_u32 v0, v0, v1, v8
	v_cmp_le_i32_e32 vcc, s7, v5
	v_add3_u32 v1, v6, v10, v9
	s_and_saveexec_b64 s[0:1], vcc
	s_xor_b64 s[0:1], exec, s[0:1]
	s_cbranch_execz .LBB28_3
; %bb.2:
	v_add_u32_e32 v3, v1, v2
	v_ashrrev_i32_e32 v4, 31, v3
	v_lshlrev_b64 v[3:4], 1, v[3:4]
	v_mov_b32_e32 v1, s17
	v_add_co_u32_e32 v3, vcc, s16, v3
	v_addc_co_u32_e32 v4, vcc, v1, v4, vcc
	global_load_ushort v5, v[3:4], off
	v_add_u32_e32 v0, v0, v2
	v_ashrrev_i32_e32 v1, 31, v0
	v_lshlrev_b64 v[0:1], 1, v[0:1]
	v_mov_b32_e32 v2, s19
	v_add_co_u32_e32 v0, vcc, s18, v0
	v_addc_co_u32_e32 v1, vcc, v2, v1, vcc
	s_waitcnt vmcnt(0)
	global_store_short v[0:1], v5, off
	global_load_ushort v2, v[3:4], off offset:2
                                        ; implicit-def: $vgpr3
                                        ; implicit-def: $vgpr5
	s_waitcnt vmcnt(0)
	global_store_short v[0:1], v2, off offset:2
                                        ; implicit-def: $vgpr1
                                        ; implicit-def: $vgpr0
                                        ; implicit-def: $vgpr2
.LBB28_3:
	s_andn2_saveexec_b64 s[0:1], s[0:1]
	s_cbranch_execz .LBB28_44
; %bb.4:
	s_load_dwordx4 s[20:23], s[4:5], 0x60
	s_load_dwordx2 s[8:9], s[4:5], 0x50
	v_sub_u32_e32 v7, 0, v2
	v_max_i32_e32 v7, v2, v7
	s_waitcnt lgkmcnt(0)
	s_add_i32 s1, s21, s20
	s_add_i32 s0, s1, s22
	;; [unrolled: 1-line block ×3, first 2 shown]
	s_abs_i32 s2, s2
	v_cvt_f32_u32_e32 v4, s2
	s_sub_i32 s3, 0, s2
	v_rcp_iflag_f32_e32 v4, v4
	v_mul_f32_e32 v4, 0x4f7ffffe, v4
	v_cvt_u32_f32_e32 v4, v4
	v_mul_lo_u32 v6, s3, v4
	s_load_dword s3, s[4:5], 0x70
	s_load_dwordx2 s[24:25], s[4:5], 0x38
	s_load_dwordx4 s[12:15], s[4:5], 0x40
	s_waitcnt lgkmcnt(0)
	s_and_b32 s3, s3, 1
	v_mul_hi_u32 v6, v4, v6
	s_cmp_eq_u32 s3, 0
	v_add_u32_e32 v4, v4, v6
	v_mul_hi_u32 v4, v7, v4
	v_ashrrev_i32_e32 v6, 31, v2
	v_mul_lo_u32 v4, v4, s2
	v_sub_u32_e32 v4, v7, v4
	v_subrev_u32_e32 v7, s2, v4
	v_cmp_le_u32_e32 vcc, s2, v4
	v_cndmask_b32_e32 v4, v4, v7, vcc
	v_subrev_u32_e32 v7, s2, v4
	v_cmp_le_u32_e32 vcc, s2, v4
	v_cndmask_b32_e32 v4, v4, v7, vcc
	v_xor_b32_e32 v4, v4, v6
	v_sub_u32_e32 v6, v4, v6
	s_cbranch_scc0 .LBB28_20
; %bb.5:
	v_cmp_le_i32_e32 vcc, s20, v6
                                        ; implicit-def: $vgpr7
	s_and_saveexec_b64 s[2:3], vcc
	s_xor_b64 s[26:27], exec, s[2:3]
	s_cbranch_execz .LBB28_15
; %bb.6:
	v_cmp_le_i32_e32 vcc, s1, v6
                                        ; implicit-def: $vgpr7
	s_and_saveexec_b64 s[2:3], vcc
	s_xor_b64 s[28:29], exec, s[2:3]
	s_cbranch_execz .LBB28_12
; %bb.7:
	v_cvt_f32_i32_e32 v4, v5
	v_cmp_le_i32_e32 vcc, s0, v6
	v_cmp_neq_f32_e64 s[0:1], s9, 1.0
	v_mov_b32_e32 v8, s9
	v_mul_f32_e32 v4, 0.5, v4
	v_cndmask_b32_e64 v7, 1.0, v4, s[0:1]
	v_cmp_neq_f32_e64 s[0:1], 0, v7
	v_cndmask_b32_e64 v4, 1.0, v8, s[0:1]
	v_frexp_mant_f32_e64 v8, |v4|
	s_mov_b32 s0, 0x3f2aaaab
	v_cmp_gt_f32_e64 s[0:1], s0, v8
	v_cndmask_b32_e64 v9, 1.0, 2.0, s[0:1]
	v_mul_f32_e32 v8, v8, v9
	v_add_f32_e32 v9, 1.0, v8
	v_rcp_f32_e32 v10, v9
	v_add_f32_e32 v11, -1.0, v8
	v_add_f32_e32 v12, -1.0, v9
	v_sub_f32_e32 v8, v8, v12
	v_mul_f32_e32 v12, v11, v10
	v_mul_f32_e32 v13, v9, v12
	v_fma_f32 v9, v12, v9, -v13
	v_fmac_f32_e32 v9, v12, v8
	v_add_f32_e32 v8, v13, v9
	v_sub_f32_e32 v14, v11, v8
	v_sub_f32_e32 v13, v8, v13
	;; [unrolled: 1-line block ×5, first 2 shown]
	v_add_f32_e32 v8, v9, v8
	v_add_f32_e32 v8, v14, v8
	v_mul_f32_e32 v8, v10, v8
	v_add_f32_e32 v10, v12, v8
	v_sub_f32_e32 v9, v10, v12
	v_sub_f32_e32 v11, v8, v9
	v_mul_f32_e32 v8, v10, v10
	v_fma_f32 v9, v10, v10, -v8
	v_add_f32_e32 v12, v11, v11
	v_fmac_f32_e32 v9, v10, v12
	v_add_f32_e32 v12, v8, v9
	v_mov_b32_e32 v13, 0x3e91f4c4
	v_sub_f32_e32 v8, v12, v8
	v_fmac_f32_e32 v13, 0x3e76c4e1, v12
	v_mov_b32_e32 v14, 0x3ecccdef
	v_sub_f32_e32 v8, v9, v8
	v_mul_f32_e32 v9, v10, v12
	v_fmac_f32_e32 v14, v12, v13
	v_fma_f32 v13, v12, v10, -v9
	v_fmac_f32_e32 v13, v12, v11
	v_fmac_f32_e32 v13, v8, v10
	v_add_f32_e32 v15, v9, v13
	v_sub_f32_e32 v9, v15, v9
	v_sub_f32_e32 v13, v13, v9
	v_mul_f32_e32 v9, v12, v14
	v_fma_f32 v12, v12, v14, -v9
	v_fmac_f32_e32 v12, v8, v14
	v_add_f32_e32 v14, v9, v12
	v_sub_f32_e32 v8, v14, v9
	v_sub_f32_e32 v12, v12, v8
	v_cvt_f64_f32_e64 v[8:9], |v4|
	v_add_f32_e32 v16, 0x3f2aaaaa, v14
	v_add_f32_e32 v17, 0xbf2aaaaa, v16
	;; [unrolled: 1-line block ×3, first 2 shown]
	v_frexp_exp_i32_f64_e32 v8, v[8:9]
	v_sub_f32_e32 v14, v14, v17
	v_add_f32_e32 v9, v12, v14
	v_add_f32_e32 v12, v16, v9
	v_sub_f32_e32 v14, v16, v12
	v_add_f32_e32 v9, v9, v14
	v_mul_f32_e32 v14, v15, v12
	v_fma_f32 v16, v15, v12, -v14
	v_subbrev_co_u32_e64 v8, s[0:1], 0, v8, s[0:1]
	v_cvt_f32_i32_e32 v8, v8
	v_fmac_f32_e32 v16, v15, v9
	s_mov_b32 s0, 0x3f317218
	v_fmac_f32_e32 v16, v13, v12
	v_mul_f32_e32 v9, 0x3f317218, v8
	v_fma_f32 v12, v8, s0, -v9
	v_fmac_f32_e32 v12, 0xb102e308, v8
	v_ldexp_f32 v8, v11, 1
	v_add_f32_e32 v11, v9, v12
	v_sub_f32_e32 v9, v11, v9
	v_ldexp_f32 v10, v10, 1
	v_sub_f32_e32 v9, v12, v9
	v_add_f32_e32 v12, v14, v16
	v_sub_f32_e32 v13, v12, v14
	v_add_f32_e32 v14, v10, v12
	v_sub_f32_e32 v13, v16, v13
	v_sub_f32_e32 v10, v14, v10
	;; [unrolled: 1-line block ×3, first 2 shown]
	v_add_f32_e32 v8, v8, v13
	v_add_f32_e32 v8, v8, v10
	;; [unrolled: 1-line block ×3, first 2 shown]
	v_sub_f32_e32 v12, v10, v14
	v_sub_f32_e32 v8, v8, v12
	v_add_f32_e32 v12, v11, v10
	v_sub_f32_e32 v13, v12, v11
	v_sub_f32_e32 v14, v12, v13
	;; [unrolled: 1-line block ×4, first 2 shown]
	v_add_f32_e32 v10, v10, v11
	v_add_f32_e32 v11, v9, v8
	v_sub_f32_e32 v13, v11, v9
	v_sub_f32_e32 v14, v11, v13
	;; [unrolled: 1-line block ×4, first 2 shown]
	v_add_f32_e32 v8, v8, v9
	v_add_f32_e32 v9, v11, v10
	;; [unrolled: 1-line block ×3, first 2 shown]
	v_sub_f32_e32 v11, v10, v12
	v_sub_f32_e32 v9, v9, v11
	v_add_f32_e32 v8, v8, v9
	v_add_f32_e32 v9, v10, v8
	v_sub_f32_e32 v10, v9, v10
	v_sub_f32_e32 v8, v8, v10
	v_mul_f32_e32 v10, v7, v9
	v_fma_f32 v9, v7, v9, -v10
	v_fmac_f32_e32 v9, v7, v8
	s_movk_i32 s6, 0x204
	v_add_f32_e32 v8, v10, v9
	v_cmp_class_f32_e64 s[0:1], v10, s6
	v_sub_f32_e32 v11, v8, v10
	v_cndmask_b32_e64 v8, v8, v10, s[0:1]
	s_mov_b32 s3, 0x42b17218
	v_mov_b32_e32 v10, 0x37000000
	v_cmp_eq_f32_e64 s[0:1], s3, v8
	v_cndmask_b32_e64 v10, 0, v10, s[0:1]
	v_sub_f32_e32 v9, v9, v11
	v_sub_f32_e32 v11, v8, v10
	s_mov_b32 s0, 0x3fb8aa3b
	v_mul_f32_e32 v12, 0x3fb8aa3b, v11
	v_fma_f32 v13, v11, s0, -v12
	v_rndne_f32_e32 v14, v12
	v_fmac_f32_e32 v13, 0x32a5705f, v11
	v_sub_f32_e32 v12, v12, v14
	v_add_f32_e32 v12, v12, v13
	v_exp_f32_e32 v12, v12
	v_cvt_i32_f32_e32 v13, v14
	s_mov_b32 s2, 0x7f800000
	v_cmp_neq_f32_e64 s[0:1], |v8|, s2
	v_cndmask_b32_e64 v8, 0, v9, s[0:1]
	s_mov_b32 s0, 0xc2ce8ed0
	v_ldexp_f32 v9, v12, v13
	v_cmp_ngt_f32_e64 s[0:1], s0, v11
	v_add_f32_e32 v8, v10, v8
	v_cndmask_b32_e64 v9, 0, v9, s[0:1]
	v_mov_b32_e32 v10, 0x7f800000
	v_cmp_nlt_f32_e64 s[0:1], s3, v11
	v_cndmask_b32_e64 v9, v10, v9, s[0:1]
	v_fma_f32 v8, v9, v8, v9
	v_cmp_class_f32_e64 s[0:1], v9, s6
	v_cndmask_b32_e64 v8, v8, v9, s[0:1]
	v_trunc_f32_e32 v9, v7
	v_cmp_eq_f32_e64 s[0:1], v9, v7
	v_mul_f32_e32 v9, 0.5, v7
	v_trunc_f32_e32 v12, v9
	v_cmp_neq_f32_e64 s[2:3], v12, v9
	s_and_b64 s[2:3], s[0:1], s[2:3]
	v_cndmask_b32_e64 v9, 1.0, v4, s[2:3]
	s_brev_b32 s11, -2
	v_mov_b32_e32 v11, 0x7fc00000
	v_bfi_b32 v8, s11, v8, v9
	v_cndmask_b32_e64 v9, v11, v8, s[0:1]
	v_cmp_gt_f32_e64 s[0:1], 0, v4
	v_cndmask_b32_e64 v8, v8, v9, s[0:1]
	v_cmp_neq_f32_e64 s[0:1], v7, |v7|
	v_cmp_lt_f32_e64 s[4:5], |v4|, 1.0
	s_xor_b64 s[0:1], s[0:1], s[4:5]
	v_cndmask_b32_e64 v9, v10, 0, s[0:1]
	v_cmp_neq_f32_e64 s[0:1], |v4|, 1.0
	v_cndmask_b32_e64 v9, 1.0, v9, s[0:1]
	v_cmp_class_f32_e64 s[0:1], v7, s6
	v_cndmask_b32_e64 v8, v8, v9, s[0:1]
	v_cmp_eq_f32_e64 s[0:1], 0, v4
	v_cmp_gt_f32_e64 s[4:5], 0, v7
	s_xor_b64 s[4:5], s[4:5], s[0:1]
	v_cmp_class_f32_e64 s[30:31], v4, s6
	v_cndmask_b32_e64 v7, v10, 0, s[4:5]
	v_cndmask_b32_e64 v9, 0, v4, s[2:3]
	v_bfi_b32 v7, s11, v7, v9
	s_or_b64 s[0:1], s[0:1], s[30:31]
	v_cndmask_b32_e64 v7, v8, v7, s[0:1]
	v_cmp_o_f32_e64 s[0:1], v4, v4
	v_cndmask_b32_e64 v4, v11, v7, s[0:1]
                                        ; implicit-def: $vgpr7
	s_and_saveexec_b64 s[0:1], vcc
	s_xor_b64 s[0:1], exec, s[0:1]
	s_cbranch_execz .LBB28_9
; %bb.8:
	v_mad_u64_u32 v[7:8], s[2:3], s10, 3, v[3:4]
	v_mov_b32_e32 v8, 0
	v_mov_b32_e32 v9, s25
	v_lshlrev_b64 v[7:8], 2, v[7:8]
	v_add_co_u32_e32 v7, vcc, s24, v7
	v_addc_co_u32_e32 v8, vcc, v9, v8, vcc
	global_load_dword v7, v[7:8], off
	s_waitcnt vmcnt(0)
	v_cvt_f32_i32_e32 v7, v7
	v_mul_f32_e32 v7, v4, v7
                                        ; implicit-def: $vgpr4
.LBB28_9:
	s_andn2_saveexec_b64 s[0:1], s[0:1]
	s_cbranch_execz .LBB28_11
; %bb.10:
	v_lshl_add_u32 v7, s10, 1, v3
	v_mov_b32_e32 v8, 0
	v_lshlrev_b64 v[7:8], 2, v[7:8]
	v_mov_b32_e32 v9, s25
	v_add_co_u32_e32 v7, vcc, s24, v7
	v_addc_co_u32_e32 v8, vcc, v9, v8, vcc
	global_load_dword v7, v[7:8], off
	s_waitcnt vmcnt(0)
	v_cvt_f32_i32_e32 v7, v7
	v_mul_f32_e32 v7, v4, v7
.LBB28_11:
	s_or_b64 exec, exec, s[0:1]
.LBB28_12:
	s_andn2_saveexec_b64 s[4:5], s[28:29]
	s_cbranch_execz .LBB28_14
; %bb.13:
	v_add_u32_e32 v7, s10, v3
	v_mov_b32_e32 v8, 0
	v_lshlrev_b64 v[7:8], 2, v[7:8]
	v_mov_b32_e32 v4, s25
	v_add_co_u32_e32 v7, vcc, s24, v7
	v_addc_co_u32_e32 v8, vcc, v4, v8, vcc
	v_cvt_f32_i32_e32 v4, v5
	v_cmp_neq_f32_e64 vcc, s9, 1.0
	global_load_dword v8, v[7:8], off
	v_mov_b32_e32 v9, s9
	v_mul_f32_e32 v4, 0.5, v4
	v_cndmask_b32_e32 v7, 1.0, v4, vcc
	v_cmp_neq_f32_e32 vcc, 0, v7
	v_cndmask_b32_e32 v4, 1.0, v9, vcc
	s_mov_b32 s0, 0x3f2aaaab
	v_frexp_mant_f32_e64 v13, |v4|
	v_cmp_gt_f32_e32 vcc, s0, v13
	v_cndmask_b32_e64 v14, 1.0, 2.0, vcc
	v_mul_f32_e32 v13, v13, v14
	v_add_f32_e32 v15, 1.0, v13
	v_cvt_f64_f32_e64 v[9:10], |v4|
	v_rcp_f32_e32 v16, v15
	v_add_f32_e32 v14, -1.0, v13
	v_add_f32_e32 v17, -1.0, v15
	v_frexp_exp_i32_f64_e32 v9, v[9:10]
	v_sub_f32_e32 v10, v13, v17
	v_mul_f32_e32 v13, v14, v16
	v_mul_f32_e32 v17, v15, v13
	v_fma_f32 v15, v13, v15, -v17
	v_fmac_f32_e32 v15, v13, v10
	v_add_f32_e32 v10, v17, v15
	v_sub_f32_e32 v18, v14, v10
	v_sub_f32_e32 v17, v10, v17
	;; [unrolled: 1-line block ×5, first 2 shown]
	v_add_f32_e32 v10, v15, v10
	v_add_f32_e32 v10, v18, v10
	v_mul_f32_e32 v10, v16, v10
	v_add_f32_e32 v14, v13, v10
	v_sub_f32_e32 v13, v14, v13
	v_mul_f32_e32 v15, v14, v14
	v_sub_f32_e32 v10, v10, v13
	v_fma_f32 v13, v14, v14, -v15
	v_add_f32_e32 v16, v10, v10
	v_fmac_f32_e32 v13, v14, v16
	v_mov_b32_e32 v11, 0x3e91f4c4
	v_add_f32_e32 v16, v15, v13
	v_mov_b32_e32 v12, 0x3ecccdef
	v_fmac_f32_e32 v11, 0x3e76c4e1, v16
	v_sub_f32_e32 v15, v16, v15
	v_mul_f32_e32 v17, v14, v16
	v_fmac_f32_e32 v12, v16, v11
	v_sub_f32_e32 v11, v13, v15
	v_fma_f32 v13, v16, v14, -v17
	v_fmac_f32_e32 v13, v16, v10
	v_mul_f32_e32 v15, v16, v12
	v_fmac_f32_e32 v13, v11, v14
	v_fma_f32 v16, v16, v12, -v15
	v_add_f32_e32 v18, v17, v13
	v_fmac_f32_e32 v16, v11, v12
	v_sub_f32_e32 v11, v18, v17
	v_add_f32_e32 v12, v15, v16
	v_sub_f32_e32 v11, v13, v11
	v_add_f32_e32 v13, 0x3f2aaaaa, v12
	v_sub_f32_e32 v15, v12, v15
	v_sub_f32_e32 v15, v16, v15
	v_add_f32_e32 v16, 0xbf2aaaaa, v13
	v_add_f32_e32 v15, 0x31739010, v15
	v_sub_f32_e32 v12, v12, v16
	v_subbrev_co_u32_e32 v9, vcc, 0, v9, vcc
	v_add_f32_e32 v12, v15, v12
	v_cvt_f32_i32_e32 v9, v9
	v_add_f32_e32 v15, v13, v12
	v_sub_f32_e32 v13, v13, v15
	v_mul_f32_e32 v16, v18, v15
	v_add_f32_e32 v12, v12, v13
	v_fma_f32 v13, v18, v15, -v16
	v_fmac_f32_e32 v13, v18, v12
	s_mov_b32 s1, 0x3f317218
	v_fmac_f32_e32 v13, v11, v15
	v_mul_f32_e32 v11, 0x3f317218, v9
	v_fma_f32 v12, v9, s1, -v11
	v_fmac_f32_e32 v12, 0xb102e308, v9
	v_ldexp_f32 v9, v10, 1
	v_ldexp_f32 v10, v14, 1
	v_add_f32_e32 v14, v11, v12
	v_sub_f32_e32 v11, v14, v11
	v_sub_f32_e32 v11, v12, v11
	v_add_f32_e32 v12, v16, v13
	v_sub_f32_e32 v15, v12, v16
	v_sub_f32_e32 v13, v13, v15
	;; [unrolled: 3-line block ×3, first 2 shown]
	v_add_f32_e32 v9, v9, v13
	v_add_f32_e32 v9, v9, v10
	;; [unrolled: 1-line block ×3, first 2 shown]
	v_sub_f32_e32 v12, v10, v15
	v_sub_f32_e32 v9, v9, v12
	v_add_f32_e32 v12, v14, v10
	v_sub_f32_e32 v13, v12, v14
	v_sub_f32_e32 v15, v12, v13
	;; [unrolled: 1-line block ×4, first 2 shown]
	v_add_f32_e32 v13, v11, v9
	v_add_f32_e32 v10, v10, v14
	v_sub_f32_e32 v14, v13, v11
	v_sub_f32_e32 v15, v13, v14
	;; [unrolled: 1-line block ×4, first 2 shown]
	v_add_f32_e32 v10, v13, v10
	v_add_f32_e32 v9, v9, v11
	;; [unrolled: 1-line block ×3, first 2 shown]
	v_sub_f32_e32 v12, v11, v12
	v_sub_f32_e32 v10, v10, v12
	v_add_f32_e32 v9, v9, v10
	v_add_f32_e32 v10, v11, v9
	v_sub_f32_e32 v11, v10, v11
	v_sub_f32_e32 v9, v9, v11
	v_mul_f32_e32 v11, v7, v10
	v_fma_f32 v10, v7, v10, -v11
	v_fmac_f32_e32 v10, v7, v9
	s_movk_i32 s6, 0x204
	v_add_f32_e32 v9, v11, v10
	v_cmp_class_f32_e64 vcc, v11, s6
	v_sub_f32_e32 v12, v9, v11
	v_cndmask_b32_e32 v9, v9, v11, vcc
	s_mov_b32 s1, 0x42b17218
	v_mov_b32_e32 v11, 0x37000000
	v_cmp_eq_f32_e32 vcc, s1, v9
	v_cndmask_b32_e32 v11, 0, v11, vcc
	v_sub_f32_e32 v10, v10, v12
	v_sub_f32_e32 v12, v9, v11
	s_mov_b32 s2, 0x3fb8aa3b
	v_mul_f32_e32 v13, 0x3fb8aa3b, v12
	v_fma_f32 v14, v12, s2, -v13
	v_rndne_f32_e32 v15, v13
	v_fmac_f32_e32 v14, 0x32a5705f, v12
	v_sub_f32_e32 v13, v13, v15
	v_add_f32_e32 v13, v13, v14
	v_exp_f32_e32 v13, v13
	v_cvt_i32_f32_e32 v14, v15
	s_mov_b32 s0, 0x7f800000
	v_cmp_neq_f32_e64 vcc, |v9|, s0
	s_mov_b32 s0, 0xc2ce8ed0
	v_cndmask_b32_e32 v9, 0, v10, vcc
	v_ldexp_f32 v10, v13, v14
	v_cmp_ngt_f32_e32 vcc, s0, v12
	v_add_f32_e32 v9, v11, v9
	v_cndmask_b32_e32 v10, 0, v10, vcc
	v_mov_b32_e32 v11, 0x7f800000
	v_cmp_nlt_f32_e32 vcc, s1, v12
	v_cndmask_b32_e32 v10, v11, v10, vcc
	v_fma_f32 v9, v10, v9, v10
	v_cmp_class_f32_e64 vcc, v10, s6
	v_cndmask_b32_e32 v9, v9, v10, vcc
	v_trunc_f32_e32 v10, v7
	v_cmp_eq_f32_e32 vcc, v10, v7
	v_mul_f32_e32 v10, 0.5, v7
	v_trunc_f32_e32 v13, v10
	v_cmp_neq_f32_e64 s[0:1], v13, v10
	s_and_b64 s[0:1], vcc, s[0:1]
	v_cndmask_b32_e64 v10, 1.0, v4, s[0:1]
	s_brev_b32 s11, -2
	v_mov_b32_e32 v12, 0x7fc00000
	v_bfi_b32 v9, s11, v9, v10
	v_cmp_neq_f32_e64 s[2:3], v7, |v7|
	v_cmp_lt_f32_e64 s[28:29], |v4|, 1.0
	v_cndmask_b32_e32 v10, v12, v9, vcc
	v_cmp_gt_f32_e32 vcc, 0, v4
	s_xor_b64 s[2:3], s[2:3], s[28:29]
	v_cndmask_b32_e32 v9, v9, v10, vcc
	v_cndmask_b32_e64 v10, v11, 0, s[2:3]
	v_cmp_neq_f32_e64 vcc, |v4|, 1.0
	v_cndmask_b32_e32 v10, 1.0, v10, vcc
	v_cmp_class_f32_e64 vcc, v7, s6
	v_cndmask_b32_e32 v9, v9, v10, vcc
	v_cmp_eq_f32_e32 vcc, 0, v4
	v_cmp_gt_f32_e64 s[2:3], 0, v7
	s_xor_b64 s[2:3], s[2:3], vcc
	s_waitcnt vmcnt(0)
	v_cvt_f32_i32_e32 v8, v8
	v_cmp_class_f32_e64 s[28:29], v4, s6
	v_cndmask_b32_e64 v7, v11, 0, s[2:3]
	v_cndmask_b32_e64 v10, 0, v4, s[0:1]
	v_bfi_b32 v7, s11, v7, v10
	s_or_b64 vcc, vcc, s[28:29]
	v_cndmask_b32_e32 v7, v9, v7, vcc
	v_cmp_o_f32_e32 vcc, v4, v4
	v_cndmask_b32_e32 v4, v12, v7, vcc
	v_mul_f32_e32 v7, v4, v8
.LBB28_14:
	s_or_b64 exec, exec, s[4:5]
.LBB28_15:
	s_andn2_saveexec_b64 s[4:5], s[26:27]
	s_cbranch_execz .LBB28_17
; %bb.16:
	v_mov_b32_e32 v4, 0
	v_lshlrev_b64 v[7:8], 2, v[3:4]
	v_mov_b32_e32 v4, s25
	v_add_co_u32_e32 v7, vcc, s24, v7
	v_addc_co_u32_e32 v8, vcc, v4, v8, vcc
	v_cvt_f32_i32_e32 v4, v5
	v_cmp_neq_f32_e64 vcc, s9, 1.0
	global_load_dword v8, v[7:8], off
	v_mov_b32_e32 v9, s9
	v_mul_f32_e32 v4, 0.5, v4
	v_cndmask_b32_e32 v7, 1.0, v4, vcc
	v_cmp_neq_f32_e32 vcc, 0, v7
	v_cndmask_b32_e32 v4, 1.0, v9, vcc
	s_mov_b32 s0, 0x3f2aaaab
	v_frexp_mant_f32_e64 v13, |v4|
	v_cmp_gt_f32_e32 vcc, s0, v13
	v_cndmask_b32_e64 v14, 1.0, 2.0, vcc
	v_mul_f32_e32 v13, v13, v14
	v_add_f32_e32 v15, 1.0, v13
	v_cvt_f64_f32_e64 v[9:10], |v4|
	v_rcp_f32_e32 v16, v15
	v_add_f32_e32 v14, -1.0, v13
	v_add_f32_e32 v17, -1.0, v15
	v_frexp_exp_i32_f64_e32 v9, v[9:10]
	v_sub_f32_e32 v10, v13, v17
	v_mul_f32_e32 v13, v14, v16
	v_mul_f32_e32 v17, v15, v13
	v_fma_f32 v15, v13, v15, -v17
	v_fmac_f32_e32 v15, v13, v10
	v_add_f32_e32 v10, v17, v15
	v_sub_f32_e32 v18, v14, v10
	v_sub_f32_e32 v17, v10, v17
	;; [unrolled: 1-line block ×5, first 2 shown]
	v_add_f32_e32 v10, v15, v10
	v_add_f32_e32 v10, v18, v10
	v_mul_f32_e32 v10, v16, v10
	v_add_f32_e32 v15, v13, v10
	v_sub_f32_e32 v13, v15, v13
	v_mul_f32_e32 v16, v15, v15
	v_sub_f32_e32 v10, v10, v13
	v_fma_f32 v13, v15, v15, -v16
	v_add_f32_e32 v17, v10, v10
	v_fmac_f32_e32 v13, v15, v17
	v_mov_b32_e32 v11, 0x3e91f4c4
	v_add_f32_e32 v17, v16, v13
	v_mov_b32_e32 v12, 0x3ecccdef
	v_fmac_f32_e32 v11, 0x3e76c4e1, v17
	v_sub_f32_e32 v16, v17, v16
	v_mul_f32_e32 v18, v15, v17
	v_fmac_f32_e32 v12, v17, v11
	v_sub_f32_e32 v11, v13, v16
	v_fma_f32 v13, v17, v15, -v18
	v_fmac_f32_e32 v13, v17, v10
	v_mul_f32_e32 v16, v17, v12
	v_fmac_f32_e32 v13, v11, v15
	v_fma_f32 v17, v17, v12, -v16
	v_add_f32_e32 v19, v18, v13
	v_fmac_f32_e32 v17, v11, v12
	v_sub_f32_e32 v11, v19, v18
	v_add_f32_e32 v12, v16, v17
	v_sub_f32_e32 v11, v13, v11
	v_add_f32_e32 v13, 0x3f2aaaaa, v12
	v_sub_f32_e32 v16, v12, v16
	v_sub_f32_e32 v16, v17, v16
	v_add_f32_e32 v17, 0xbf2aaaaa, v13
	v_subbrev_co_u32_e32 v9, vcc, 0, v9, vcc
	v_add_f32_e32 v16, 0x31739010, v16
	v_sub_f32_e32 v12, v12, v17
	v_cvt_f32_i32_e32 v9, v9
	v_add_f32_e32 v12, v16, v12
	v_add_f32_e32 v16, v13, v12
	v_sub_f32_e32 v13, v13, v16
	v_mul_f32_e32 v17, v19, v16
	v_add_f32_e32 v12, v12, v13
	v_fma_f32 v13, v19, v16, -v17
	s_mov_b32 s1, 0x3f317218
	v_mul_f32_e32 v14, 0x3f317218, v9
	v_fmac_f32_e32 v13, v19, v12
	v_fmac_f32_e32 v13, v11, v16
	v_fma_f32 v11, v9, s1, -v14
	v_fmac_f32_e32 v11, 0xb102e308, v9
	v_add_f32_e32 v12, v14, v11
	v_sub_f32_e32 v14, v12, v14
	v_sub_f32_e32 v11, v11, v14
	v_add_f32_e32 v14, v17, v13
	v_ldexp_f32 v9, v10, 1
	v_ldexp_f32 v10, v15, 1
	v_sub_f32_e32 v15, v14, v17
	v_sub_f32_e32 v13, v13, v15
	v_add_f32_e32 v15, v10, v14
	v_sub_f32_e32 v10, v15, v10
	v_sub_f32_e32 v10, v14, v10
	v_add_f32_e32 v9, v9, v13
	v_add_f32_e32 v9, v9, v10
	;; [unrolled: 1-line block ×3, first 2 shown]
	v_sub_f32_e32 v13, v10, v15
	v_sub_f32_e32 v9, v9, v13
	v_add_f32_e32 v13, v12, v10
	v_sub_f32_e32 v14, v13, v12
	v_sub_f32_e32 v15, v13, v14
	;; [unrolled: 1-line block ×4, first 2 shown]
	v_add_f32_e32 v10, v10, v12
	v_add_f32_e32 v12, v11, v9
	v_sub_f32_e32 v14, v12, v11
	v_sub_f32_e32 v15, v12, v14
	;; [unrolled: 1-line block ×4, first 2 shown]
	v_add_f32_e32 v10, v12, v10
	v_add_f32_e32 v9, v9, v11
	;; [unrolled: 1-line block ×3, first 2 shown]
	v_sub_f32_e32 v12, v11, v13
	v_sub_f32_e32 v10, v10, v12
	v_add_f32_e32 v9, v9, v10
	v_add_f32_e32 v10, v11, v9
	v_sub_f32_e32 v11, v10, v11
	v_sub_f32_e32 v9, v9, v11
	v_mul_f32_e32 v11, v7, v10
	v_fma_f32 v10, v7, v10, -v11
	v_fmac_f32_e32 v10, v7, v9
	s_movk_i32 s6, 0x204
	v_add_f32_e32 v9, v11, v10
	v_cmp_class_f32_e64 vcc, v11, s6
	v_sub_f32_e32 v12, v9, v11
	v_cndmask_b32_e32 v9, v9, v11, vcc
	s_mov_b32 s1, 0x42b17218
	v_mov_b32_e32 v11, 0x37000000
	v_cmp_eq_f32_e32 vcc, s1, v9
	v_cndmask_b32_e32 v11, 0, v11, vcc
	v_sub_f32_e32 v10, v10, v12
	v_sub_f32_e32 v12, v9, v11
	s_mov_b32 s2, 0x3fb8aa3b
	v_mul_f32_e32 v13, 0x3fb8aa3b, v12
	v_fma_f32 v14, v12, s2, -v13
	v_rndne_f32_e32 v15, v13
	v_fmac_f32_e32 v14, 0x32a5705f, v12
	v_sub_f32_e32 v13, v13, v15
	v_add_f32_e32 v13, v13, v14
	v_exp_f32_e32 v13, v13
	v_cvt_i32_f32_e32 v14, v15
	s_mov_b32 s0, 0x7f800000
	v_cmp_neq_f32_e64 vcc, |v9|, s0
	s_mov_b32 s0, 0xc2ce8ed0
	v_cndmask_b32_e32 v9, 0, v10, vcc
	v_ldexp_f32 v10, v13, v14
	v_cmp_ngt_f32_e32 vcc, s0, v12
	v_add_f32_e32 v9, v11, v9
	v_cndmask_b32_e32 v10, 0, v10, vcc
	v_mov_b32_e32 v11, 0x7f800000
	v_cmp_nlt_f32_e32 vcc, s1, v12
	v_cndmask_b32_e32 v10, v11, v10, vcc
	v_fma_f32 v9, v10, v9, v10
	v_cmp_class_f32_e64 vcc, v10, s6
	v_cndmask_b32_e32 v9, v9, v10, vcc
	v_trunc_f32_e32 v10, v7
	v_cmp_eq_f32_e32 vcc, v10, v7
	v_mul_f32_e32 v10, 0.5, v7
	v_trunc_f32_e32 v13, v10
	v_cmp_neq_f32_e64 s[0:1], v13, v10
	s_and_b64 s[0:1], vcc, s[0:1]
	v_cndmask_b32_e64 v10, 1.0, v4, s[0:1]
	s_brev_b32 s11, -2
	v_mov_b32_e32 v12, 0x7fc00000
	v_bfi_b32 v9, s11, v9, v10
	v_cmp_neq_f32_e64 s[2:3], v7, |v7|
	v_cmp_lt_f32_e64 s[26:27], |v4|, 1.0
	v_cndmask_b32_e32 v10, v12, v9, vcc
	v_cmp_gt_f32_e32 vcc, 0, v4
	s_xor_b64 s[2:3], s[2:3], s[26:27]
	v_cndmask_b32_e32 v9, v9, v10, vcc
	v_cndmask_b32_e64 v10, v11, 0, s[2:3]
	v_cmp_neq_f32_e64 vcc, |v4|, 1.0
	v_cndmask_b32_e32 v10, 1.0, v10, vcc
	v_cmp_class_f32_e64 vcc, v7, s6
	v_cndmask_b32_e32 v9, v9, v10, vcc
	v_cmp_eq_f32_e32 vcc, 0, v4
	v_cmp_gt_f32_e64 s[2:3], 0, v7
	s_xor_b64 s[2:3], s[2:3], vcc
	s_waitcnt vmcnt(0)
	v_cvt_f32_i32_e32 v8, v8
	v_cmp_class_f32_e64 s[26:27], v4, s6
	v_cndmask_b32_e64 v7, v11, 0, s[2:3]
	v_cndmask_b32_e64 v10, 0, v4, s[0:1]
	v_bfi_b32 v7, s11, v7, v10
	s_or_b64 vcc, vcc, s[26:27]
	v_cndmask_b32_e32 v7, v9, v7, vcc
	v_cmp_o_f32_e32 vcc, v4, v4
	v_cndmask_b32_e32 v4, v12, v7, vcc
	v_mul_f32_e32 v7, v4, v8
.LBB28_17:
	s_or_b64 exec, exec, s[4:5]
	s_cbranch_execz .LBB28_21
; %bb.18:
	v_cmp_eq_f32_e64 s[0:1], s13, 0
	v_mul_f32_e32 v3, s12, v7
	s_and_b64 vcc, exec, s[0:1]
	s_cbranch_vccnz .LBB28_34
.LBB28_19:
	v_cvt_f32_i32_e32 v2, v2
	v_div_scale_f32 v5, s[0:1], s12, s12, 1.0
	v_mov_b32_e32 v4, s15
	v_sub_f32_e32 v4, s8, v4
	v_subrev_f32_e32 v2, s15, v2
	v_max_f32_e32 v4, 0x3a83126f, v4
	v_div_scale_f32 v6, s[0:1], v4, v4, v2
	v_div_scale_f32 v8, s[0:1], 1.0, s12, 1.0
	v_div_scale_f32 v9, vcc, v2, v4, v2
	s_mov_b32 s2, 0x3f317217
	s_mov_b32 s3, 0x7f800000
	v_rcp_f32_e32 v10, v5
	v_fma_f32 v11, -v5, v10, 1.0
	v_fmac_f32_e32 v10, v11, v10
	v_rcp_f32_e32 v12, v6
	v_mul_f32_e32 v11, v8, v10
	v_fma_f32 v13, -v5, v11, v8
	v_fmac_f32_e32 v11, v13, v10
	v_fma_f32 v13, -v6, v12, 1.0
	v_fmac_f32_e32 v12, v13, v12
	v_fma_f32 v5, -v5, v11, v8
	v_mul_f32_e32 v8, v9, v12
	v_fma_f32 v13, -v6, v8, v9
	v_fmac_f32_e32 v8, v13, v12
	v_fma_f32 v6, -v6, v8, v9
	v_div_fmas_f32 v6, v6, v12, v8
	s_mov_b64 vcc, s[0:1]
	v_div_fmas_f32 v5, v5, v10, v11
	s_mov_b32 s0, 0x800000
	v_mov_b32_e32 v8, 0x41b17218
	v_div_fixup_f32 v2, v6, v4, v2 clamp
	v_sub_f32_e32 v2, 1.0, v2
	v_div_fixup_f32 v4, v5, s12, 1.0
	v_cmp_gt_f32_e32 vcc, s0, v4
	s_and_b64 s[0:1], vcc, exec
	s_cselect_b32 s0, 32, 0
	v_ldexp_f32 v4, v4, s0
	v_log_f32_e32 v4, v4
	v_mul_f32_e32 v5, s13, v2
	v_fma_f32 v2, -s13, v2, 1.0
	v_mul_f32_e32 v3, v2, v3
	v_mul_f32_e32 v2, 0x3f317217, v4
	v_fma_f32 v2, v4, s2, -v2
	v_fmac_f32_e32 v2, 0x3377d1cf, v4
	v_cndmask_b32_e32 v6, 0, v8, vcc
	v_fmac_f32_e32 v2, 0x3f317217, v4
	v_cmp_lt_f32_e64 vcc, |v4|, s3
	v_cndmask_b32_e32 v2, v4, v2, vcc
	v_sub_f32_e32 v2, v2, v6
	s_mov_b32 s0, 0x3dcccccd
	v_fma_f32 v2, v2, s0, 1.0
	v_fmac_f32_e32 v3, v5, v7
	v_mul_f32_e32 v4, s14, v2
	s_branch .LBB28_35
.LBB28_20:
                                        ; implicit-def: $vgpr7
.LBB28_21:
	s_mov_b32 s0, 0x55555556
	v_mul_hi_i32 v4, v6, s0
	s_mul_i32 s0, s21, 3
	v_cmp_le_i32_e64 s[0:1], s0, v6
	v_lshrrev_b32_e32 v7, 31, v4
	v_add_u32_e32 v4, v4, v7
	v_lshl_add_u32 v4, v4, 1, v4
	v_sub_u32_e32 v4, v6, v4
	v_cmp_ne_u32_e32 vcc, 1, v4
	s_or_b64 s[0:1], vcc, s[0:1]
                                        ; implicit-def: $vgpr7
	s_and_saveexec_b64 s[2:3], s[0:1]
	s_xor_b64 s[4:5], exec, s[2:3]
	s_cbranch_execz .LBB28_31
; %bb.22:
	s_mul_i32 s0, s22, 3
	v_cmp_ne_u32_e32 vcc, 2, v4
	v_cmp_le_i32_e64 s[0:1], s0, v6
	s_or_b64 s[0:1], vcc, s[0:1]
                                        ; implicit-def: $vgpr7
	s_and_saveexec_b64 s[2:3], s[0:1]
	s_xor_b64 s[22:23], exec, s[2:3]
	s_cbranch_execz .LBB28_28
; %bb.23:
	s_mul_i32 s0, s20, 3
	v_cmp_ne_u32_e32 vcc, 0, v4
	v_cmp_le_i32_e64 s[0:1], s0, v6
	s_or_b64 s[0:1], vcc, s[0:1]
                                        ; implicit-def: $vgpr7
	s_and_saveexec_b64 s[2:3], s[0:1]
	s_xor_b64 s[20:21], exec, s[2:3]
	s_cbranch_execz .LBB28_25
; %bb.24:
	v_mad_u64_u32 v[3:4], s[0:1], s10, 3, v[3:4]
	v_mov_b32_e32 v4, 0
	v_mov_b32_e32 v6, s25
	v_lshlrev_b64 v[3:4], 2, v[3:4]
	s_mov_b32 s0, 0x3f2aaaab
	v_add_co_u32_e32 v3, vcc, s24, v3
	v_addc_co_u32_e32 v4, vcc, v6, v4, vcc
	global_load_dword v6, v[3:4], off
	v_cvt_f32_i32_e32 v3, v5
	v_cmp_neq_f32_e64 vcc, s9, 1.0
	v_mov_b32_e32 v5, s9
	v_mov_b32_e32 v9, 0x3e91f4c4
	v_mul_f32_e32 v3, 0.5, v3
	v_cndmask_b32_e32 v4, 1.0, v3, vcc
	v_cmp_neq_f32_e32 vcc, 0, v4
	v_cndmask_b32_e32 v3, 1.0, v5, vcc
	v_frexp_mant_f32_e64 v5, |v3|
	v_cmp_gt_f32_e32 vcc, s0, v5
	v_cndmask_b32_e64 v11, 1.0, 2.0, vcc
	v_mul_f32_e32 v5, v5, v11
	v_add_f32_e32 v12, 1.0, v5
	v_cvt_f64_f32_e64 v[7:8], |v3|
	v_rcp_f32_e32 v13, v12
	v_add_f32_e32 v11, -1.0, v5
	v_add_f32_e32 v14, -1.0, v12
	v_frexp_exp_i32_f64_e32 v7, v[7:8]
	v_mul_f32_e32 v8, v11, v13
	v_sub_f32_e32 v5, v5, v14
	v_mul_f32_e32 v14, v12, v8
	v_fma_f32 v12, v8, v12, -v14
	v_fmac_f32_e32 v12, v8, v5
	v_add_f32_e32 v5, v14, v12
	v_sub_f32_e32 v15, v11, v5
	v_sub_f32_e32 v14, v5, v14
	;; [unrolled: 1-line block ×5, first 2 shown]
	v_add_f32_e32 v5, v12, v5
	v_add_f32_e32 v5, v15, v5
	v_mul_f32_e32 v5, v13, v5
	v_add_f32_e32 v13, v8, v5
	v_sub_f32_e32 v8, v13, v8
	v_mul_f32_e32 v14, v13, v13
	v_sub_f32_e32 v5, v5, v8
	v_fma_f32 v8, v13, v13, -v14
	v_add_f32_e32 v15, v5, v5
	v_fmac_f32_e32 v8, v13, v15
	v_add_f32_e32 v15, v14, v8
	v_mov_b32_e32 v10, 0x3ecccdef
	v_fmac_f32_e32 v9, 0x3e76c4e1, v15
	v_mul_f32_e32 v16, v13, v15
	v_sub_f32_e32 v14, v15, v14
	v_fmac_f32_e32 v10, v15, v9
	v_fma_f32 v9, v15, v13, -v16
	v_sub_f32_e32 v8, v8, v14
	v_fmac_f32_e32 v9, v15, v5
	v_mul_f32_e32 v14, v15, v10
	v_fmac_f32_e32 v9, v8, v13
	v_fma_f32 v15, v15, v10, -v14
	v_add_f32_e32 v17, v16, v9
	v_fmac_f32_e32 v15, v8, v10
	v_sub_f32_e32 v8, v17, v16
	v_add_f32_e32 v10, v14, v15
	v_subbrev_co_u32_e32 v7, vcc, 0, v7, vcc
	v_sub_f32_e32 v8, v9, v8
	v_add_f32_e32 v9, 0x3f2aaaaa, v10
	v_sub_f32_e32 v14, v10, v14
	v_cvt_f32_i32_e32 v7, v7
	v_sub_f32_e32 v14, v15, v14
	v_add_f32_e32 v15, 0xbf2aaaaa, v9
	v_add_f32_e32 v14, 0x31739010, v14
	v_sub_f32_e32 v10, v10, v15
	v_add_f32_e32 v10, v14, v10
	v_add_f32_e32 v14, v9, v10
	s_mov_b32 s1, 0x3f317218
	v_mul_f32_e32 v11, 0x3f317218, v7
	v_sub_f32_e32 v9, v9, v14
	v_mul_f32_e32 v15, v17, v14
	v_fma_f32 v12, v7, s1, -v11
	v_add_f32_e32 v9, v10, v9
	v_fma_f32 v10, v17, v14, -v15
	v_fmac_f32_e32 v10, v17, v9
	v_fmac_f32_e32 v12, 0xb102e308, v7
	;; [unrolled: 1-line block ×3, first 2 shown]
	v_add_f32_e32 v8, v11, v12
	v_sub_f32_e32 v9, v8, v11
	v_add_f32_e32 v11, v15, v10
	v_ldexp_f32 v7, v13, 1
	v_sub_f32_e32 v9, v12, v9
	v_sub_f32_e32 v12, v11, v15
	;; [unrolled: 1-line block ×3, first 2 shown]
	v_add_f32_e32 v12, v7, v11
	v_ldexp_f32 v5, v5, 1
	v_sub_f32_e32 v7, v12, v7
	v_sub_f32_e32 v7, v11, v7
	v_add_f32_e32 v5, v5, v10
	v_add_f32_e32 v5, v5, v7
	;; [unrolled: 1-line block ×3, first 2 shown]
	v_sub_f32_e32 v10, v7, v12
	v_sub_f32_e32 v5, v5, v10
	v_add_f32_e32 v10, v8, v7
	v_sub_f32_e32 v11, v10, v8
	v_sub_f32_e32 v12, v10, v11
	;; [unrolled: 1-line block ×4, first 2 shown]
	v_add_f32_e32 v7, v7, v8
	v_add_f32_e32 v8, v9, v5
	v_sub_f32_e32 v11, v8, v9
	v_sub_f32_e32 v12, v8, v11
	v_add_f32_e32 v7, v8, v7
	v_sub_f32_e32 v9, v9, v12
	v_sub_f32_e32 v5, v5, v11
	v_add_f32_e32 v8, v10, v7
	v_add_f32_e32 v5, v5, v9
	v_sub_f32_e32 v9, v8, v10
	v_sub_f32_e32 v7, v7, v9
	v_add_f32_e32 v5, v5, v7
	v_add_f32_e32 v7, v8, v5
	v_sub_f32_e32 v8, v7, v8
	v_sub_f32_e32 v5, v5, v8
	v_mul_f32_e32 v8, v4, v7
	v_fma_f32 v7, v4, v7, -v8
	v_fmac_f32_e32 v7, v4, v5
	s_movk_i32 s6, 0x204
	v_add_f32_e32 v5, v8, v7
	v_cmp_class_f32_e64 vcc, v8, s6
	v_sub_f32_e32 v9, v5, v8
	v_cndmask_b32_e32 v5, v5, v8, vcc
	s_mov_b32 s1, 0x42b17218
	v_mov_b32_e32 v8, 0x37000000
	v_cmp_eq_f32_e32 vcc, s1, v5
	v_cndmask_b32_e32 v8, 0, v8, vcc
	v_sub_f32_e32 v7, v7, v9
	v_sub_f32_e32 v9, v5, v8
	s_mov_b32 s2, 0x3fb8aa3b
	v_mul_f32_e32 v10, 0x3fb8aa3b, v9
	v_fma_f32 v11, v9, s2, -v10
	v_rndne_f32_e32 v12, v10
	v_fmac_f32_e32 v11, 0x32a5705f, v9
	v_sub_f32_e32 v10, v10, v12
	v_add_f32_e32 v10, v10, v11
	v_exp_f32_e32 v10, v10
	v_cvt_i32_f32_e32 v11, v12
	s_mov_b32 s0, 0x7f800000
	v_cmp_neq_f32_e64 vcc, |v5|, s0
	s_mov_b32 s0, 0xc2ce8ed0
	v_cndmask_b32_e32 v5, 0, v7, vcc
	v_ldexp_f32 v7, v10, v11
	v_cmp_ngt_f32_e32 vcc, s0, v9
	v_add_f32_e32 v5, v8, v5
	v_cndmask_b32_e32 v7, 0, v7, vcc
	v_mov_b32_e32 v8, 0x7f800000
	v_cmp_nlt_f32_e32 vcc, s1, v9
	v_cndmask_b32_e32 v7, v8, v7, vcc
	v_fma_f32 v5, v7, v5, v7
	v_cmp_class_f32_e64 vcc, v7, s6
	v_cndmask_b32_e32 v5, v5, v7, vcc
	v_trunc_f32_e32 v7, v4
	v_cmp_eq_f32_e32 vcc, v7, v4
	v_mul_f32_e32 v7, 0.5, v4
	v_trunc_f32_e32 v10, v7
	v_cmp_neq_f32_e64 s[0:1], v10, v7
	s_and_b64 s[0:1], vcc, s[0:1]
	v_cndmask_b32_e64 v7, 1.0, v3, s[0:1]
	s_brev_b32 s11, -2
	v_mov_b32_e32 v9, 0x7fc00000
	v_bfi_b32 v5, s11, v5, v7
	v_cmp_neq_f32_e64 s[2:3], v4, |v4|
	v_cmp_lt_f32_e64 s[26:27], |v3|, 1.0
	v_cndmask_b32_e32 v7, v9, v5, vcc
	v_cmp_gt_f32_e32 vcc, 0, v3
	s_xor_b64 s[2:3], s[2:3], s[26:27]
	v_cndmask_b32_e32 v5, v5, v7, vcc
	v_cndmask_b32_e64 v7, v8, 0, s[2:3]
	v_cmp_neq_f32_e64 vcc, |v3|, 1.0
	v_cndmask_b32_e32 v7, 1.0, v7, vcc
	v_cmp_class_f32_e64 vcc, v4, s6
	v_cndmask_b32_e32 v5, v5, v7, vcc
	v_cmp_eq_f32_e32 vcc, 0, v3
	v_cmp_gt_f32_e64 s[2:3], 0, v4
	s_xor_b64 s[2:3], s[2:3], vcc
	s_waitcnt vmcnt(0)
	v_cvt_f32_i32_e32 v6, v6
	v_cmp_class_f32_e64 s[26:27], v3, s6
	v_cndmask_b32_e64 v4, v8, 0, s[2:3]
	v_cndmask_b32_e64 v7, 0, v3, s[0:1]
	v_bfi_b32 v4, s11, v4, v7
	s_or_b64 vcc, vcc, s[26:27]
	v_cndmask_b32_e32 v4, v5, v4, vcc
	v_cmp_o_f32_e32 vcc, v3, v3
	v_cndmask_b32_e32 v3, v9, v4, vcc
	v_mul_f32_e32 v7, v3, v6
                                        ; implicit-def: $vgpr3
                                        ; implicit-def: $vgpr5
.LBB28_25:
	s_andn2_saveexec_b64 s[20:21], s[20:21]
	s_cbranch_execz .LBB28_27
; %bb.26:
	v_mov_b32_e32 v4, 0
	v_lshlrev_b64 v[3:4], 2, v[3:4]
	v_mov_b32_e32 v6, s25
	v_add_co_u32_e32 v3, vcc, s24, v3
	v_addc_co_u32_e32 v4, vcc, v6, v4, vcc
	global_load_dword v6, v[3:4], off
	v_cvt_f32_i32_e32 v3, v5
	v_cmp_neq_f32_e64 vcc, s9, 1.0
	v_mov_b32_e32 v5, s9
	s_mov_b32 s0, 0x3f2aaaab
	v_mul_f32_e32 v3, 0.5, v3
	v_cndmask_b32_e32 v4, 1.0, v3, vcc
	v_cmp_neq_f32_e32 vcc, 0, v4
	v_cndmask_b32_e32 v3, 1.0, v5, vcc
	v_frexp_mant_f32_e64 v5, |v3|
	v_cmp_gt_f32_e32 vcc, s0, v5
	v_cndmask_b32_e64 v11, 1.0, 2.0, vcc
	v_mul_f32_e32 v5, v5, v11
	v_add_f32_e32 v12, 1.0, v5
	v_cvt_f64_f32_e64 v[7:8], |v3|
	v_rcp_f32_e32 v13, v12
	v_add_f32_e32 v11, -1.0, v5
	v_add_f32_e32 v14, -1.0, v12
	v_frexp_exp_i32_f64_e32 v7, v[7:8]
	v_mul_f32_e32 v8, v11, v13
	v_sub_f32_e32 v5, v5, v14
	v_mul_f32_e32 v14, v12, v8
	v_fma_f32 v12, v8, v12, -v14
	v_fmac_f32_e32 v12, v8, v5
	v_add_f32_e32 v5, v14, v12
	v_sub_f32_e32 v15, v11, v5
	v_sub_f32_e32 v14, v5, v14
	;; [unrolled: 1-line block ×5, first 2 shown]
	v_add_f32_e32 v5, v12, v5
	v_add_f32_e32 v5, v15, v5
	v_mul_f32_e32 v5, v13, v5
	v_add_f32_e32 v12, v8, v5
	v_sub_f32_e32 v8, v12, v8
	v_mul_f32_e32 v13, v12, v12
	v_sub_f32_e32 v5, v5, v8
	v_fma_f32 v8, v12, v12, -v13
	v_add_f32_e32 v14, v5, v5
	v_fmac_f32_e32 v8, v12, v14
	v_mov_b32_e32 v9, 0x3e91f4c4
	v_add_f32_e32 v14, v13, v8
	v_mov_b32_e32 v10, 0x3ecccdef
	v_fmac_f32_e32 v9, 0x3e76c4e1, v14
	v_mul_f32_e32 v15, v12, v14
	v_sub_f32_e32 v13, v14, v13
	v_fmac_f32_e32 v10, v14, v9
	v_fma_f32 v9, v14, v12, -v15
	v_sub_f32_e32 v8, v8, v13
	v_fmac_f32_e32 v9, v14, v5
	v_mul_f32_e32 v13, v14, v10
	v_fmac_f32_e32 v9, v8, v12
	v_fma_f32 v14, v14, v10, -v13
	v_add_f32_e32 v16, v15, v9
	v_fmac_f32_e32 v14, v8, v10
	v_sub_f32_e32 v8, v16, v15
	v_add_f32_e32 v10, v13, v14
	v_sub_f32_e32 v8, v9, v8
	v_add_f32_e32 v9, 0x3f2aaaaa, v10
	v_sub_f32_e32 v13, v10, v13
	v_sub_f32_e32 v13, v14, v13
	v_add_f32_e32 v14, 0xbf2aaaaa, v9
	v_subbrev_co_u32_e32 v7, vcc, 0, v7, vcc
	v_add_f32_e32 v13, 0x31739010, v13
	v_sub_f32_e32 v10, v10, v14
	v_cvt_f32_i32_e32 v7, v7
	v_add_f32_e32 v10, v13, v10
	v_add_f32_e32 v13, v9, v10
	v_sub_f32_e32 v9, v9, v13
	v_mul_f32_e32 v14, v16, v13
	v_add_f32_e32 v9, v10, v9
	v_fma_f32 v10, v16, v13, -v14
	s_mov_b32 s1, 0x3f317218
	v_mul_f32_e32 v11, 0x3f317218, v7
	v_fmac_f32_e32 v10, v16, v9
	v_fmac_f32_e32 v10, v8, v13
	v_fma_f32 v8, v7, s1, -v11
	v_fmac_f32_e32 v8, 0xb102e308, v7
	v_add_f32_e32 v9, v11, v8
	v_sub_f32_e32 v11, v9, v11
	v_sub_f32_e32 v8, v8, v11
	v_add_f32_e32 v11, v14, v10
	v_ldexp_f32 v7, v12, 1
	v_sub_f32_e32 v12, v11, v14
	v_sub_f32_e32 v10, v10, v12
	v_add_f32_e32 v12, v7, v11
	v_ldexp_f32 v5, v5, 1
	v_sub_f32_e32 v7, v12, v7
	v_sub_f32_e32 v7, v11, v7
	v_add_f32_e32 v5, v5, v10
	v_add_f32_e32 v5, v5, v7
	;; [unrolled: 1-line block ×3, first 2 shown]
	v_sub_f32_e32 v10, v7, v12
	v_sub_f32_e32 v5, v5, v10
	v_add_f32_e32 v10, v9, v7
	v_sub_f32_e32 v11, v10, v9
	v_sub_f32_e32 v12, v10, v11
	;; [unrolled: 1-line block ×4, first 2 shown]
	v_add_f32_e32 v7, v7, v9
	v_add_f32_e32 v9, v8, v5
	v_sub_f32_e32 v11, v9, v8
	v_sub_f32_e32 v12, v9, v11
	;; [unrolled: 1-line block ×4, first 2 shown]
	v_add_f32_e32 v7, v9, v7
	v_add_f32_e32 v5, v5, v8
	;; [unrolled: 1-line block ×3, first 2 shown]
	v_sub_f32_e32 v9, v8, v10
	v_sub_f32_e32 v7, v7, v9
	v_add_f32_e32 v5, v5, v7
	v_add_f32_e32 v7, v8, v5
	v_sub_f32_e32 v8, v7, v8
	v_sub_f32_e32 v5, v5, v8
	v_mul_f32_e32 v8, v4, v7
	v_fma_f32 v7, v4, v7, -v8
	v_fmac_f32_e32 v7, v4, v5
	s_movk_i32 s6, 0x204
	v_add_f32_e32 v5, v8, v7
	v_cmp_class_f32_e64 vcc, v8, s6
	v_sub_f32_e32 v9, v5, v8
	v_cndmask_b32_e32 v5, v5, v8, vcc
	s_mov_b32 s1, 0x42b17218
	v_mov_b32_e32 v8, 0x37000000
	v_cmp_eq_f32_e32 vcc, s1, v5
	v_cndmask_b32_e32 v8, 0, v8, vcc
	v_sub_f32_e32 v7, v7, v9
	v_sub_f32_e32 v9, v5, v8
	s_mov_b32 s2, 0x3fb8aa3b
	v_mul_f32_e32 v10, 0x3fb8aa3b, v9
	v_fma_f32 v11, v9, s2, -v10
	v_rndne_f32_e32 v12, v10
	v_fmac_f32_e32 v11, 0x32a5705f, v9
	v_sub_f32_e32 v10, v10, v12
	v_add_f32_e32 v10, v10, v11
	v_exp_f32_e32 v10, v10
	v_cvt_i32_f32_e32 v11, v12
	s_mov_b32 s0, 0x7f800000
	v_cmp_neq_f32_e64 vcc, |v5|, s0
	s_mov_b32 s0, 0xc2ce8ed0
	v_cndmask_b32_e32 v5, 0, v7, vcc
	v_ldexp_f32 v7, v10, v11
	v_cmp_ngt_f32_e32 vcc, s0, v9
	v_add_f32_e32 v5, v8, v5
	v_cndmask_b32_e32 v7, 0, v7, vcc
	v_mov_b32_e32 v8, 0x7f800000
	v_cmp_nlt_f32_e32 vcc, s1, v9
	v_cndmask_b32_e32 v7, v8, v7, vcc
	v_fma_f32 v5, v7, v5, v7
	v_cmp_class_f32_e64 vcc, v7, s6
	v_cndmask_b32_e32 v5, v5, v7, vcc
	v_trunc_f32_e32 v7, v4
	v_cmp_eq_f32_e32 vcc, v7, v4
	v_mul_f32_e32 v7, 0.5, v4
	v_trunc_f32_e32 v10, v7
	v_cmp_neq_f32_e64 s[0:1], v10, v7
	s_and_b64 s[0:1], vcc, s[0:1]
	v_cndmask_b32_e64 v7, 1.0, v3, s[0:1]
	s_brev_b32 s11, -2
	v_mov_b32_e32 v9, 0x7fc00000
	v_bfi_b32 v5, s11, v5, v7
	v_cmp_neq_f32_e64 s[2:3], v4, |v4|
	v_cmp_lt_f32_e64 s[26:27], |v3|, 1.0
	v_cndmask_b32_e32 v7, v9, v5, vcc
	v_cmp_gt_f32_e32 vcc, 0, v3
	s_xor_b64 s[2:3], s[2:3], s[26:27]
	v_cndmask_b32_e32 v5, v5, v7, vcc
	v_cndmask_b32_e64 v7, v8, 0, s[2:3]
	v_cmp_neq_f32_e64 vcc, |v3|, 1.0
	v_cndmask_b32_e32 v7, 1.0, v7, vcc
	v_cmp_class_f32_e64 vcc, v4, s6
	v_cndmask_b32_e32 v5, v5, v7, vcc
	v_cmp_eq_f32_e32 vcc, 0, v3
	v_cmp_gt_f32_e64 s[2:3], 0, v4
	s_xor_b64 s[2:3], s[2:3], vcc
	s_waitcnt vmcnt(0)
	v_cvt_f32_i32_e32 v6, v6
	v_cmp_class_f32_e64 s[26:27], v3, s6
	v_cndmask_b32_e64 v4, v8, 0, s[2:3]
	v_cndmask_b32_e64 v7, 0, v3, s[0:1]
	v_bfi_b32 v4, s11, v4, v7
	s_or_b64 vcc, vcc, s[26:27]
	v_cndmask_b32_e32 v4, v5, v4, vcc
	v_cmp_o_f32_e32 vcc, v3, v3
	v_cndmask_b32_e32 v3, v9, v4, vcc
	v_mul_f32_e32 v7, v3, v6
.LBB28_27:
	s_or_b64 exec, exec, s[20:21]
                                        ; implicit-def: $vgpr3
                                        ; implicit-def: $vgpr5
.LBB28_28:
	s_andn2_saveexec_b64 s[20:21], s[22:23]
	s_cbranch_execz .LBB28_30
; %bb.29:
	v_lshl_add_u32 v3, s10, 1, v3
	v_mov_b32_e32 v4, 0
	v_lshlrev_b64 v[3:4], 2, v[3:4]
	v_mov_b32_e32 v6, s25
	v_add_co_u32_e32 v3, vcc, s24, v3
	v_addc_co_u32_e32 v4, vcc, v6, v4, vcc
	global_load_dword v6, v[3:4], off
	v_cvt_f32_i32_e32 v3, v5
	v_cmp_neq_f32_e64 vcc, s9, 1.0
	v_mov_b32_e32 v5, s9
	s_mov_b32 s0, 0x3f2aaaab
	v_mul_f32_e32 v3, 0.5, v3
	v_cndmask_b32_e32 v4, 1.0, v3, vcc
	v_cmp_neq_f32_e32 vcc, 0, v4
	v_cndmask_b32_e32 v3, 1.0, v5, vcc
	v_frexp_mant_f32_e64 v5, |v3|
	v_cmp_gt_f32_e32 vcc, s0, v5
	v_cndmask_b32_e64 v11, 1.0, 2.0, vcc
	v_mul_f32_e32 v5, v5, v11
	v_add_f32_e32 v12, 1.0, v5
	v_cvt_f64_f32_e64 v[7:8], |v3|
	v_rcp_f32_e32 v13, v12
	v_add_f32_e32 v11, -1.0, v5
	v_add_f32_e32 v14, -1.0, v12
	v_frexp_exp_i32_f64_e32 v7, v[7:8]
	v_mul_f32_e32 v8, v11, v13
	v_sub_f32_e32 v5, v5, v14
	v_mul_f32_e32 v14, v12, v8
	v_fma_f32 v12, v8, v12, -v14
	v_fmac_f32_e32 v12, v8, v5
	v_add_f32_e32 v5, v14, v12
	v_sub_f32_e32 v15, v11, v5
	v_sub_f32_e32 v14, v5, v14
	;; [unrolled: 1-line block ×5, first 2 shown]
	v_add_f32_e32 v5, v12, v5
	v_add_f32_e32 v5, v15, v5
	v_mul_f32_e32 v5, v13, v5
	v_add_f32_e32 v11, v8, v5
	v_sub_f32_e32 v8, v11, v8
	v_mul_f32_e32 v12, v11, v11
	v_sub_f32_e32 v5, v5, v8
	v_fma_f32 v8, v11, v11, -v12
	v_add_f32_e32 v13, v5, v5
	v_fmac_f32_e32 v8, v11, v13
	v_mov_b32_e32 v9, 0x3e91f4c4
	v_add_f32_e32 v13, v12, v8
	v_mov_b32_e32 v10, 0x3ecccdef
	v_fmac_f32_e32 v9, 0x3e76c4e1, v13
	v_mul_f32_e32 v14, v11, v13
	v_sub_f32_e32 v12, v13, v12
	v_fmac_f32_e32 v10, v13, v9
	v_fma_f32 v9, v13, v11, -v14
	v_sub_f32_e32 v8, v8, v12
	v_fmac_f32_e32 v9, v13, v5
	v_mul_f32_e32 v12, v13, v10
	v_fmac_f32_e32 v9, v8, v11
	v_fma_f32 v13, v13, v10, -v12
	v_add_f32_e32 v15, v14, v9
	v_fmac_f32_e32 v13, v8, v10
	v_sub_f32_e32 v8, v15, v14
	v_add_f32_e32 v10, v12, v13
	v_sub_f32_e32 v8, v9, v8
	v_add_f32_e32 v9, 0x3f2aaaaa, v10
	v_sub_f32_e32 v12, v10, v12
	v_sub_f32_e32 v12, v13, v12
	v_add_f32_e32 v13, 0xbf2aaaaa, v9
	v_add_f32_e32 v12, 0x31739010, v12
	v_sub_f32_e32 v10, v10, v13
	v_subbrev_co_u32_e32 v7, vcc, 0, v7, vcc
	v_add_f32_e32 v10, v12, v10
	v_cvt_f32_i32_e32 v7, v7
	v_add_f32_e32 v12, v9, v10
	v_sub_f32_e32 v9, v9, v12
	v_mul_f32_e32 v13, v15, v12
	v_add_f32_e32 v9, v10, v9
	v_fma_f32 v10, v15, v12, -v13
	v_fmac_f32_e32 v10, v15, v9
	s_mov_b32 s1, 0x3f317218
	v_fmac_f32_e32 v10, v8, v12
	v_mul_f32_e32 v8, 0x3f317218, v7
	v_fma_f32 v9, v7, s1, -v8
	v_fmac_f32_e32 v9, 0xb102e308, v7
	v_ldexp_f32 v7, v11, 1
	v_add_f32_e32 v11, v8, v9
	v_sub_f32_e32 v8, v11, v8
	v_sub_f32_e32 v8, v9, v8
	v_add_f32_e32 v9, v13, v10
	v_sub_f32_e32 v12, v9, v13
	v_sub_f32_e32 v10, v10, v12
	v_add_f32_e32 v12, v7, v9
	v_ldexp_f32 v5, v5, 1
	v_sub_f32_e32 v7, v12, v7
	v_sub_f32_e32 v7, v9, v7
	v_add_f32_e32 v5, v5, v10
	v_add_f32_e32 v5, v5, v7
	;; [unrolled: 1-line block ×3, first 2 shown]
	v_sub_f32_e32 v9, v7, v12
	v_sub_f32_e32 v5, v5, v9
	v_add_f32_e32 v9, v11, v7
	v_sub_f32_e32 v10, v9, v11
	v_sub_f32_e32 v12, v9, v10
	;; [unrolled: 1-line block ×4, first 2 shown]
	v_add_f32_e32 v10, v8, v5
	v_add_f32_e32 v7, v7, v11
	v_sub_f32_e32 v11, v10, v8
	v_sub_f32_e32 v12, v10, v11
	;; [unrolled: 1-line block ×4, first 2 shown]
	v_add_f32_e32 v7, v10, v7
	v_add_f32_e32 v5, v5, v8
	;; [unrolled: 1-line block ×3, first 2 shown]
	v_sub_f32_e32 v9, v8, v9
	v_sub_f32_e32 v7, v7, v9
	v_add_f32_e32 v5, v5, v7
	v_add_f32_e32 v7, v8, v5
	v_sub_f32_e32 v8, v7, v8
	v_sub_f32_e32 v5, v5, v8
	v_mul_f32_e32 v8, v4, v7
	v_fma_f32 v7, v4, v7, -v8
	v_fmac_f32_e32 v7, v4, v5
	s_movk_i32 s6, 0x204
	v_add_f32_e32 v5, v8, v7
	v_cmp_class_f32_e64 vcc, v8, s6
	v_sub_f32_e32 v9, v5, v8
	v_cndmask_b32_e32 v5, v5, v8, vcc
	s_mov_b32 s1, 0x42b17218
	v_mov_b32_e32 v8, 0x37000000
	v_cmp_eq_f32_e32 vcc, s1, v5
	v_cndmask_b32_e32 v8, 0, v8, vcc
	v_sub_f32_e32 v7, v7, v9
	v_sub_f32_e32 v9, v5, v8
	s_mov_b32 s2, 0x3fb8aa3b
	v_mul_f32_e32 v10, 0x3fb8aa3b, v9
	v_fma_f32 v11, v9, s2, -v10
	v_rndne_f32_e32 v12, v10
	v_fmac_f32_e32 v11, 0x32a5705f, v9
	v_sub_f32_e32 v10, v10, v12
	v_add_f32_e32 v10, v10, v11
	v_exp_f32_e32 v10, v10
	v_cvt_i32_f32_e32 v11, v12
	s_mov_b32 s0, 0x7f800000
	v_cmp_neq_f32_e64 vcc, |v5|, s0
	s_mov_b32 s0, 0xc2ce8ed0
	v_cndmask_b32_e32 v5, 0, v7, vcc
	v_ldexp_f32 v7, v10, v11
	v_cmp_ngt_f32_e32 vcc, s0, v9
	v_add_f32_e32 v5, v8, v5
	v_cndmask_b32_e32 v7, 0, v7, vcc
	v_mov_b32_e32 v8, 0x7f800000
	v_cmp_nlt_f32_e32 vcc, s1, v9
	v_cndmask_b32_e32 v7, v8, v7, vcc
	v_fma_f32 v5, v7, v5, v7
	v_cmp_class_f32_e64 vcc, v7, s6
	v_cndmask_b32_e32 v5, v5, v7, vcc
	v_trunc_f32_e32 v7, v4
	v_cmp_eq_f32_e32 vcc, v7, v4
	v_mul_f32_e32 v7, 0.5, v4
	v_trunc_f32_e32 v10, v7
	v_cmp_neq_f32_e64 s[0:1], v10, v7
	s_and_b64 s[0:1], vcc, s[0:1]
	v_cndmask_b32_e64 v7, 1.0, v3, s[0:1]
	s_brev_b32 s11, -2
	v_mov_b32_e32 v9, 0x7fc00000
	v_bfi_b32 v5, s11, v5, v7
	v_cmp_neq_f32_e64 s[2:3], v4, |v4|
	v_cmp_lt_f32_e64 s[22:23], |v3|, 1.0
	v_cndmask_b32_e32 v7, v9, v5, vcc
	v_cmp_gt_f32_e32 vcc, 0, v3
	s_xor_b64 s[2:3], s[2:3], s[22:23]
	v_cndmask_b32_e32 v5, v5, v7, vcc
	v_cndmask_b32_e64 v7, v8, 0, s[2:3]
	v_cmp_neq_f32_e64 vcc, |v3|, 1.0
	v_cndmask_b32_e32 v7, 1.0, v7, vcc
	v_cmp_class_f32_e64 vcc, v4, s6
	v_cndmask_b32_e32 v5, v5, v7, vcc
	v_cmp_eq_f32_e32 vcc, 0, v3
	v_cmp_gt_f32_e64 s[2:3], 0, v4
	s_xor_b64 s[2:3], s[2:3], vcc
	s_waitcnt vmcnt(0)
	v_cvt_f32_i32_e32 v6, v6
	v_cmp_class_f32_e64 s[22:23], v3, s6
	v_cndmask_b32_e64 v4, v8, 0, s[2:3]
	v_cndmask_b32_e64 v7, 0, v3, s[0:1]
	v_bfi_b32 v4, s11, v4, v7
	s_or_b64 vcc, vcc, s[22:23]
	v_cndmask_b32_e32 v4, v5, v4, vcc
	v_cmp_o_f32_e32 vcc, v3, v3
	v_cndmask_b32_e32 v3, v9, v4, vcc
	v_mul_f32_e32 v7, v3, v6
.LBB28_30:
	s_or_b64 exec, exec, s[20:21]
                                        ; implicit-def: $vgpr3
                                        ; implicit-def: $vgpr5
.LBB28_31:
	s_andn2_saveexec_b64 s[4:5], s[4:5]
	s_cbranch_execz .LBB28_33
; %bb.32:
	v_add_u32_e32 v3, s10, v3
	v_mov_b32_e32 v4, 0
	v_lshlrev_b64 v[3:4], 2, v[3:4]
	v_mov_b32_e32 v6, s25
	v_add_co_u32_e32 v3, vcc, s24, v3
	v_addc_co_u32_e32 v4, vcc, v6, v4, vcc
	global_load_dword v6, v[3:4], off
	v_cvt_f32_i32_e32 v3, v5
	v_cmp_neq_f32_e64 vcc, s9, 1.0
	v_mov_b32_e32 v5, s9
	s_mov_b32 s0, 0x3f2aaaab
	v_mul_f32_e32 v3, 0.5, v3
	v_cndmask_b32_e32 v4, 1.0, v3, vcc
	v_cmp_neq_f32_e32 vcc, 0, v4
	v_cndmask_b32_e32 v3, 1.0, v5, vcc
	v_frexp_mant_f32_e64 v5, |v3|
	v_cmp_gt_f32_e32 vcc, s0, v5
	v_cndmask_b32_e64 v11, 1.0, 2.0, vcc
	v_mul_f32_e32 v5, v5, v11
	v_add_f32_e32 v12, 1.0, v5
	v_cvt_f64_f32_e64 v[7:8], |v3|
	v_rcp_f32_e32 v13, v12
	v_add_f32_e32 v11, -1.0, v5
	v_add_f32_e32 v14, -1.0, v12
	v_frexp_exp_i32_f64_e32 v7, v[7:8]
	v_mul_f32_e32 v8, v11, v13
	v_sub_f32_e32 v5, v5, v14
	v_mul_f32_e32 v14, v12, v8
	v_fma_f32 v12, v8, v12, -v14
	v_fmac_f32_e32 v12, v8, v5
	v_add_f32_e32 v5, v14, v12
	v_sub_f32_e32 v15, v11, v5
	v_sub_f32_e32 v14, v5, v14
	;; [unrolled: 1-line block ×5, first 2 shown]
	v_add_f32_e32 v5, v12, v5
	v_add_f32_e32 v5, v15, v5
	v_mul_f32_e32 v5, v13, v5
	v_add_f32_e32 v11, v8, v5
	v_sub_f32_e32 v8, v11, v8
	v_mul_f32_e32 v12, v11, v11
	v_sub_f32_e32 v5, v5, v8
	v_fma_f32 v8, v11, v11, -v12
	v_add_f32_e32 v13, v5, v5
	v_fmac_f32_e32 v8, v11, v13
	v_mov_b32_e32 v9, 0x3e91f4c4
	v_add_f32_e32 v13, v12, v8
	v_mov_b32_e32 v10, 0x3ecccdef
	v_fmac_f32_e32 v9, 0x3e76c4e1, v13
	v_mul_f32_e32 v14, v11, v13
	v_sub_f32_e32 v12, v13, v12
	v_fmac_f32_e32 v10, v13, v9
	v_fma_f32 v9, v13, v11, -v14
	v_sub_f32_e32 v8, v8, v12
	v_fmac_f32_e32 v9, v13, v5
	v_mul_f32_e32 v12, v13, v10
	v_fmac_f32_e32 v9, v8, v11
	v_fma_f32 v13, v13, v10, -v12
	v_add_f32_e32 v15, v14, v9
	v_fmac_f32_e32 v13, v8, v10
	v_sub_f32_e32 v8, v15, v14
	v_add_f32_e32 v10, v12, v13
	v_sub_f32_e32 v8, v9, v8
	v_add_f32_e32 v9, 0x3f2aaaaa, v10
	v_sub_f32_e32 v12, v10, v12
	v_sub_f32_e32 v12, v13, v12
	v_add_f32_e32 v13, 0xbf2aaaaa, v9
	v_add_f32_e32 v12, 0x31739010, v12
	v_sub_f32_e32 v10, v10, v13
	v_subbrev_co_u32_e32 v7, vcc, 0, v7, vcc
	v_add_f32_e32 v10, v12, v10
	v_cvt_f32_i32_e32 v7, v7
	v_add_f32_e32 v12, v9, v10
	v_sub_f32_e32 v9, v9, v12
	v_mul_f32_e32 v13, v15, v12
	v_add_f32_e32 v9, v10, v9
	v_fma_f32 v10, v15, v12, -v13
	v_fmac_f32_e32 v10, v15, v9
	s_mov_b32 s1, 0x3f317218
	v_fmac_f32_e32 v10, v8, v12
	v_mul_f32_e32 v8, 0x3f317218, v7
	v_fma_f32 v9, v7, s1, -v8
	v_fmac_f32_e32 v9, 0xb102e308, v7
	v_ldexp_f32 v7, v11, 1
	v_add_f32_e32 v11, v8, v9
	v_sub_f32_e32 v8, v11, v8
	v_sub_f32_e32 v8, v9, v8
	v_add_f32_e32 v9, v13, v10
	v_sub_f32_e32 v12, v9, v13
	v_sub_f32_e32 v10, v10, v12
	v_add_f32_e32 v12, v7, v9
	v_ldexp_f32 v5, v5, 1
	v_sub_f32_e32 v7, v12, v7
	v_sub_f32_e32 v7, v9, v7
	v_add_f32_e32 v5, v5, v10
	v_add_f32_e32 v5, v5, v7
	;; [unrolled: 1-line block ×3, first 2 shown]
	v_sub_f32_e32 v9, v7, v12
	v_sub_f32_e32 v5, v5, v9
	v_add_f32_e32 v9, v11, v7
	v_sub_f32_e32 v10, v9, v11
	v_sub_f32_e32 v12, v9, v10
	;; [unrolled: 1-line block ×4, first 2 shown]
	v_add_f32_e32 v10, v8, v5
	v_add_f32_e32 v7, v7, v11
	v_sub_f32_e32 v11, v10, v8
	v_sub_f32_e32 v12, v10, v11
	;; [unrolled: 1-line block ×4, first 2 shown]
	v_add_f32_e32 v7, v10, v7
	v_add_f32_e32 v5, v5, v8
	;; [unrolled: 1-line block ×3, first 2 shown]
	v_sub_f32_e32 v9, v8, v9
	v_sub_f32_e32 v7, v7, v9
	v_add_f32_e32 v5, v5, v7
	v_add_f32_e32 v7, v8, v5
	v_sub_f32_e32 v8, v7, v8
	v_sub_f32_e32 v5, v5, v8
	v_mul_f32_e32 v8, v4, v7
	v_fma_f32 v7, v4, v7, -v8
	v_fmac_f32_e32 v7, v4, v5
	s_movk_i32 s6, 0x204
	v_add_f32_e32 v5, v8, v7
	v_cmp_class_f32_e64 vcc, v8, s6
	v_sub_f32_e32 v9, v5, v8
	v_cndmask_b32_e32 v5, v5, v8, vcc
	s_mov_b32 s1, 0x42b17218
	v_mov_b32_e32 v8, 0x37000000
	v_cmp_eq_f32_e32 vcc, s1, v5
	v_cndmask_b32_e32 v8, 0, v8, vcc
	v_sub_f32_e32 v7, v7, v9
	v_sub_f32_e32 v9, v5, v8
	s_mov_b32 s2, 0x3fb8aa3b
	v_mul_f32_e32 v10, 0x3fb8aa3b, v9
	v_fma_f32 v11, v9, s2, -v10
	v_rndne_f32_e32 v12, v10
	v_fmac_f32_e32 v11, 0x32a5705f, v9
	v_sub_f32_e32 v10, v10, v12
	v_add_f32_e32 v10, v10, v11
	v_exp_f32_e32 v10, v10
	v_cvt_i32_f32_e32 v11, v12
	s_mov_b32 s0, 0x7f800000
	v_cmp_neq_f32_e64 vcc, |v5|, s0
	s_mov_b32 s0, 0xc2ce8ed0
	v_cndmask_b32_e32 v5, 0, v7, vcc
	v_ldexp_f32 v7, v10, v11
	v_cmp_ngt_f32_e32 vcc, s0, v9
	v_add_f32_e32 v5, v8, v5
	v_cndmask_b32_e32 v7, 0, v7, vcc
	v_mov_b32_e32 v8, 0x7f800000
	v_cmp_nlt_f32_e32 vcc, s1, v9
	v_cndmask_b32_e32 v7, v8, v7, vcc
	v_fma_f32 v5, v7, v5, v7
	v_cmp_class_f32_e64 vcc, v7, s6
	v_cndmask_b32_e32 v5, v5, v7, vcc
	v_trunc_f32_e32 v7, v4
	v_cmp_eq_f32_e32 vcc, v7, v4
	v_mul_f32_e32 v7, 0.5, v4
	v_trunc_f32_e32 v10, v7
	v_cmp_neq_f32_e64 s[0:1], v10, v7
	s_and_b64 s[0:1], vcc, s[0:1]
	v_cndmask_b32_e64 v7, 1.0, v3, s[0:1]
	s_brev_b32 s9, -2
	v_mov_b32_e32 v9, 0x7fc00000
	v_bfi_b32 v5, s9, v5, v7
	v_cmp_neq_f32_e64 s[2:3], v4, |v4|
	v_cmp_lt_f32_e64 s[10:11], |v3|, 1.0
	v_cndmask_b32_e32 v7, v9, v5, vcc
	v_cmp_gt_f32_e32 vcc, 0, v3
	s_xor_b64 s[2:3], s[2:3], s[10:11]
	v_cndmask_b32_e32 v5, v5, v7, vcc
	v_cndmask_b32_e64 v7, v8, 0, s[2:3]
	v_cmp_neq_f32_e64 vcc, |v3|, 1.0
	v_cndmask_b32_e32 v7, 1.0, v7, vcc
	v_cmp_class_f32_e64 vcc, v4, s6
	v_cndmask_b32_e32 v5, v5, v7, vcc
	v_cmp_eq_f32_e32 vcc, 0, v3
	v_cmp_gt_f32_e64 s[2:3], 0, v4
	s_xor_b64 s[2:3], s[2:3], vcc
	s_waitcnt vmcnt(0)
	v_cvt_f32_i32_e32 v6, v6
	v_cmp_class_f32_e64 s[10:11], v3, s6
	v_cndmask_b32_e64 v4, v8, 0, s[2:3]
	v_cndmask_b32_e64 v7, 0, v3, s[0:1]
	v_bfi_b32 v4, s9, v4, v7
	s_or_b64 vcc, vcc, s[10:11]
	v_cndmask_b32_e32 v4, v5, v4, vcc
	v_cmp_o_f32_e32 vcc, v3, v3
	v_cndmask_b32_e32 v3, v9, v4, vcc
	v_mul_f32_e32 v7, v3, v6
.LBB28_33:
	s_or_b64 exec, exec, s[4:5]
	v_cmp_eq_f32_e64 s[0:1], s13, 0
	v_mul_f32_e32 v3, s12, v7
	s_and_b64 vcc, exec, s[0:1]
	s_cbranch_vccz .LBB28_19
.LBB28_34:
	v_mov_b32_e32 v4, s14
.LBB28_35:
	v_and_b32_e32 v5, 0x7fffffff, v3
	s_brev_b32 s0, 18
	v_cmp_nlt_f32_e64 s[8:9], |v3|, s0
	v_lshrrev_b32_e32 v2, 23, v5
                                        ; implicit-def: $vgpr7
                                        ; implicit-def: $vgpr6
	s_and_saveexec_b64 s[0:1], s[8:9]
	s_xor_b64 s[10:11], exec, s[0:1]
	s_cbranch_execz .LBB28_37
; %bb.36:
	v_and_b32_e32 v6, 0x7fffff, v5
	v_or_b32_e32 v15, 0x800000, v6
	s_mov_b32 s0, 0xfe5163ab
	v_mad_u64_u32 v[6:7], s[0:1], v15, s0, 0
	v_mov_b32_e32 v8, 0
	s_mov_b32 s0, 0x3c439041
	v_mad_u64_u32 v[9:10], s[0:1], v15, s0, v[7:8]
	s_mov_b32 s0, 0xdb629599
	v_add_u32_e32 v14, 0xffffff88, v2
	v_mov_b32_e32 v7, v10
	v_mad_u64_u32 v[10:11], s[0:1], v15, s0, v[7:8]
	s_mov_b32 s0, 0xf534ddc0
	v_not_b32_e32 v16, 63
	v_mov_b32_e32 v7, v11
	v_mad_u64_u32 v[11:12], s[0:1], v15, s0, v[7:8]
	s_mov_b32 s0, 0xfc2757d1
	v_cmp_lt_u32_e32 vcc, 63, v14
	v_mov_b32_e32 v7, v12
	v_mad_u64_u32 v[12:13], s[0:1], v15, s0, v[7:8]
	v_cndmask_b32_e32 v7, 0, v16, vcc
	v_add_u32_e32 v16, v7, v14
	v_mov_b32_e32 v7, v13
	s_mov_b32 s0, 0x4e441529
	v_mad_u64_u32 v[13:14], s[0:1], v15, s0, v[7:8]
	v_not_b32_e32 v17, 31
	v_cmp_lt_u32_e64 s[0:1], 31, v16
	v_cndmask_b32_e64 v7, 0, v17, s[0:1]
	v_add_u32_e32 v16, v7, v16
	v_mov_b32_e32 v7, v14
	s_mov_b32 s2, 0xa2f9836e
	v_mad_u64_u32 v[7:8], s[2:3], v15, s2, v[7:8]
	v_cmp_lt_u32_e64 s[2:3], 31, v16
	v_cndmask_b32_e64 v14, 0, v17, s[2:3]
	v_cndmask_b32_e32 v15, v13, v11, vcc
	v_cndmask_b32_e32 v7, v7, v12, vcc
	;; [unrolled: 1-line block ×3, first 2 shown]
	v_add_u32_e32 v14, v14, v16
	v_cndmask_b32_e64 v16, v7, v15, s[0:1]
	v_cndmask_b32_e64 v7, v8, v7, s[0:1]
	v_cndmask_b32_e32 v8, v12, v10, vcc
	v_cndmask_b32_e64 v12, v15, v8, s[0:1]
	v_cndmask_b32_e32 v9, v11, v9, vcc
	v_cndmask_b32_e64 v7, v7, v16, s[2:3]
	v_cndmask_b32_e64 v13, v16, v12, s[2:3]
	v_sub_u32_e32 v15, 32, v14
	v_cndmask_b32_e64 v8, v8, v9, s[0:1]
	v_alignbit_b32 v16, v7, v13, v15
	v_cmp_eq_u32_e64 s[4:5], 0, v14
	v_cndmask_b32_e64 v11, v12, v8, s[2:3]
	v_cndmask_b32_e64 v7, v16, v7, s[4:5]
	v_alignbit_b32 v12, v13, v11, v15
	v_cndmask_b32_e32 v6, v10, v6, vcc
	v_cndmask_b32_e64 v12, v12, v13, s[4:5]
	v_bfe_u32 v16, v7, 29, 1
	v_cndmask_b32_e64 v6, v9, v6, s[0:1]
	v_alignbit_b32 v13, v7, v12, 30
	v_sub_u32_e32 v17, 0, v16
	v_cndmask_b32_e64 v6, v8, v6, s[2:3]
	v_xor_b32_e32 v13, v13, v17
	v_alignbit_b32 v8, v11, v6, v15
	v_cndmask_b32_e64 v8, v8, v11, s[4:5]
	v_ffbh_u32_e32 v10, v13
	v_alignbit_b32 v9, v12, v8, 30
	v_min_u32_e32 v10, 32, v10
	v_alignbit_b32 v6, v8, v6, 30
	v_xor_b32_e32 v9, v9, v17
	v_sub_u32_e32 v11, 31, v10
	v_xor_b32_e32 v6, v6, v17
	v_alignbit_b32 v12, v13, v9, v11
	v_alignbit_b32 v6, v9, v6, v11
	v_alignbit_b32 v8, v12, v6, 9
	v_ffbh_u32_e32 v9, v8
	v_min_u32_e32 v9, 32, v9
	v_lshrrev_b32_e32 v14, 29, v7
	v_not_b32_e32 v11, v9
	v_alignbit_b32 v6, v8, v6, v11
	v_lshlrev_b32_e32 v8, 31, v14
	v_or_b32_e32 v11, 0x33000000, v8
	v_add_lshl_u32 v9, v9, v10, 23
	v_lshrrev_b32_e32 v6, 9, v6
	v_sub_u32_e32 v9, v11, v9
	v_or_b32_e32 v8, 0.5, v8
	v_lshlrev_b32_e32 v10, 23, v10
	v_or_b32_e32 v6, v9, v6
	v_lshrrev_b32_e32 v9, 9, v12
	v_sub_u32_e32 v8, v8, v10
	v_or_b32_e32 v8, v9, v8
	s_mov_b32 s0, 0x3fc90fda
	v_mul_f32_e32 v9, 0x3fc90fda, v8
	v_fma_f32 v10, v8, s0, -v9
	v_fmac_f32_e32 v10, 0x33a22168, v8
	v_fmac_f32_e32 v10, 0x3fc90fda, v6
	v_lshrrev_b32_e32 v7, 30, v7
	v_add_f32_e32 v6, v9, v10
	v_add_u32_e32 v7, v16, v7
	s_andn2_saveexec_b64 s[0:1], s[10:11]
	s_cbranch_execz .LBB28_39
	s_branch .LBB28_38
.LBB28_37:
	s_andn2_saveexec_b64 s[0:1], s[10:11]
	s_cbranch_execz .LBB28_39
.LBB28_38:
	s_mov_b32 s2, 0x3f22f983
	v_mul_f32_e64 v6, |v3|, s2
	v_rndne_f32_e32 v8, v6
	s_mov_b32 s2, 0xbfc90fda
	v_cvt_i32_f32_e32 v7, v8
	v_fma_f32 v6, v8, s2, |v3|
	v_fmac_f32_e32 v6, 0xb3a22168, v8
	v_fmac_f32_e32 v6, 0xa7c234c4, v8
.LBB28_39:
	s_or_b64 exec, exec, s[0:1]
                                        ; implicit-def: $vgpr9
                                        ; implicit-def: $vgpr8
	s_and_saveexec_b64 s[0:1], s[8:9]
	s_xor_b64 s[8:9], exec, s[0:1]
	s_cbranch_execz .LBB28_41
; %bb.40:
	v_and_b32_e32 v8, 0x7fffff, v5
	v_or_b32_e32 v17, 0x800000, v8
	s_mov_b32 s0, 0xfe5163ab
	v_mad_u64_u32 v[8:9], s[0:1], v17, s0, 0
	v_mov_b32_e32 v10, 0
	s_mov_b32 s0, 0x3c439041
	v_mad_u64_u32 v[11:12], s[0:1], v17, s0, v[9:10]
	s_mov_b32 s0, 0xdb629599
	v_add_u32_e32 v2, 0xffffff88, v2
	v_mov_b32_e32 v9, v12
	v_mad_u64_u32 v[12:13], s[0:1], v17, s0, v[9:10]
	s_mov_b32 s0, 0xf534ddc0
	v_not_b32_e32 v16, 63
	v_mov_b32_e32 v9, v13
	v_mad_u64_u32 v[13:14], s[0:1], v17, s0, v[9:10]
	s_mov_b32 s0, 0xfc2757d1
	v_cmp_lt_u32_e32 vcc, 63, v2
	v_mov_b32_e32 v9, v14
	v_mad_u64_u32 v[14:15], s[0:1], v17, s0, v[9:10]
	v_cndmask_b32_e32 v9, 0, v16, vcc
	v_add_u32_e32 v2, v9, v2
	v_mov_b32_e32 v9, v15
	s_mov_b32 s0, 0x4e441529
	v_mad_u64_u32 v[15:16], s[0:1], v17, s0, v[9:10]
	v_not_b32_e32 v18, 31
	v_cmp_lt_u32_e64 s[0:1], 31, v2
	v_cndmask_b32_e64 v9, 0, v18, s[0:1]
	v_add_u32_e32 v2, v9, v2
	v_mov_b32_e32 v9, v16
	s_mov_b32 s2, 0xa2f9836e
	v_mad_u64_u32 v[9:10], s[2:3], v17, s2, v[9:10]
	v_cmp_lt_u32_e64 s[2:3], 31, v2
	v_cndmask_b32_e64 v16, 0, v18, s[2:3]
	v_add_u32_e32 v2, v16, v2
	v_cndmask_b32_e32 v16, v15, v13, vcc
	v_cndmask_b32_e32 v9, v9, v14, vcc
	;; [unrolled: 1-line block ×3, first 2 shown]
	v_cndmask_b32_e64 v17, v9, v16, s[0:1]
	v_cndmask_b32_e64 v9, v10, v9, s[0:1]
	v_cndmask_b32_e32 v10, v14, v12, vcc
	v_cndmask_b32_e64 v14, v16, v10, s[0:1]
	v_cndmask_b32_e64 v9, v9, v17, s[2:3]
	;; [unrolled: 1-line block ×3, first 2 shown]
	v_sub_u32_e32 v16, 32, v2
	v_alignbit_b32 v17, v9, v15, v16
	v_cmp_eq_u32_e64 s[4:5], 0, v2
	v_cndmask_b32_e64 v2, v17, v9, s[4:5]
	v_cndmask_b32_e32 v9, v13, v11, vcc
	v_cndmask_b32_e64 v10, v10, v9, s[0:1]
	v_cndmask_b32_e64 v11, v14, v10, s[2:3]
	v_alignbit_b32 v13, v15, v11, v16
	v_cndmask_b32_e32 v8, v12, v8, vcc
	v_cndmask_b32_e64 v13, v13, v15, s[4:5]
	v_bfe_u32 v17, v2, 29, 1
	v_cndmask_b32_e64 v8, v9, v8, s[0:1]
	v_alignbit_b32 v14, v2, v13, 30
	v_sub_u32_e32 v18, 0, v17
	v_cndmask_b32_e64 v8, v10, v8, s[2:3]
	v_xor_b32_e32 v14, v14, v18
	v_alignbit_b32 v9, v11, v8, v16
	v_cndmask_b32_e64 v9, v9, v11, s[4:5]
	v_ffbh_u32_e32 v11, v14
	v_alignbit_b32 v10, v13, v9, 30
	v_min_u32_e32 v11, 32, v11
	v_alignbit_b32 v8, v9, v8, 30
	v_xor_b32_e32 v10, v10, v18
	v_sub_u32_e32 v12, 31, v11
	v_xor_b32_e32 v8, v8, v18
	v_alignbit_b32 v13, v14, v10, v12
	v_alignbit_b32 v8, v10, v8, v12
	;; [unrolled: 1-line block ×3, first 2 shown]
	v_ffbh_u32_e32 v10, v9
	v_min_u32_e32 v10, 32, v10
	v_lshrrev_b32_e32 v15, 29, v2
	v_not_b32_e32 v12, v10
	v_alignbit_b32 v8, v9, v8, v12
	v_lshlrev_b32_e32 v9, 31, v15
	v_or_b32_e32 v12, 0x33000000, v9
	v_add_lshl_u32 v10, v10, v11, 23
	v_lshrrev_b32_e32 v8, 9, v8
	v_sub_u32_e32 v10, v12, v10
	v_or_b32_e32 v9, 0.5, v9
	v_lshlrev_b32_e32 v11, 23, v11
	v_or_b32_e32 v8, v10, v8
	v_lshrrev_b32_e32 v10, 9, v13
	v_sub_u32_e32 v9, v9, v11
	v_or_b32_e32 v9, v10, v9
	s_mov_b32 s0, 0x3fc90fda
	v_mul_f32_e32 v10, 0x3fc90fda, v9
	v_fma_f32 v11, v9, s0, -v10
	v_fmac_f32_e32 v11, 0x33a22168, v9
	v_fmac_f32_e32 v11, 0x3fc90fda, v8
	v_lshrrev_b32_e32 v2, 30, v2
	v_add_f32_e32 v8, v10, v11
	v_add_u32_e32 v9, v17, v2
	s_andn2_saveexec_b64 s[0:1], s[8:9]
	s_cbranch_execnz .LBB28_42
	s_branch .LBB28_43
.LBB28_41:
	s_andn2_saveexec_b64 s[0:1], s[8:9]
	s_cbranch_execz .LBB28_43
.LBB28_42:
	s_mov_b32 s2, 0x3f22f983
	v_mul_f32_e64 v2, |v3|, s2
	v_rndne_f32_e32 v2, v2
	s_mov_b32 s2, 0xbfc90fda
	v_cvt_i32_f32_e32 v9, v2
	v_fma_f32 v8, v2, s2, |v3|
	v_fmac_f32_e32 v8, 0xb3a22168, v2
	v_fmac_f32_e32 v8, 0xa7c234c4, v2
.LBB28_43:
	s_or_b64 exec, exec, s[0:1]
	v_ashrrev_i32_e32 v2, 31, v1
	s_lshr_b32 s0, s7, 31
	v_lshlrev_b64 v[1:2], 1, v[1:2]
	s_add_i32 s0, s7, s0
	s_ashr_i32 s0, s0, 1
	v_mov_b32_e32 v10, s17
	v_add_co_u32_e32 v1, vcc, s16, v1
	s_ashr_i32 s1, s0, 31
	v_addc_co_u32_e32 v2, vcc, v10, v2, vcc
	s_lshl_b64 s[0:1], s[0:1], 1
	global_load_ushort v10, v[1:2], off
	v_mov_b32_e32 v11, s1
	v_add_co_u32_e32 v1, vcc, s0, v1
	v_addc_co_u32_e32 v2, vcc, v2, v11, vcc
	global_load_ushort v2, v[1:2], off
	v_ashrrev_i32_e32 v1, 31, v0
	v_lshlrev_b64 v[0:1], 1, v[0:1]
	v_mov_b32_e32 v17, s19
	v_add_co_u32_e32 v0, vcc, s18, v0
	v_mul_f32_e32 v12, v6, v6
	v_mov_b32_e32 v16, 0xbab64f3b
	v_addc_co_u32_e32 v1, vcc, v17, v1, vcc
	v_mov_b32_e32 v17, 0xbab64f3b
	v_mul_f32_e32 v19, v8, v8
	v_mov_b32_e32 v13, 0x3c0881c4
	v_mov_b32_e32 v14, 0x3c0881c4
	;; [unrolled: 1-line block ×3, first 2 shown]
	v_fmac_f32_e32 v17, 0x37d75334, v12
	v_fmac_f32_e32 v16, 0x37d75334, v19
	v_mov_b32_e32 v15, 0xbe2aaa9d
	v_fmac_f32_e32 v14, 0xb94c1982, v12
	v_fmac_f32_e32 v13, 0xb94c1982, v19
	v_fma_f32 v17, v12, v17, v18
	v_fmac_f32_e32 v18, v19, v16
	v_lshlrev_b32_e32 v16, 30, v9
	v_fma_f32 v14, v12, v14, v15
	v_fmac_f32_e32 v15, v19, v13
	v_mov_b32_e32 v13, 0xbf000004
	v_xor_b32_e32 v5, v5, v3
	v_and_b32_e32 v16, 0x80000000, v16
	v_xor_b32_e32 v5, v5, v16
	v_and_b32_e32 v16, 1, v7
	v_fma_f32 v17, v12, v17, v13
	v_mul_f32_e32 v14, v12, v14
	v_fmac_f32_e32 v13, v19, v18
	v_and_b32_e32 v9, 1, v9
	v_mul_f32_e32 v15, v19, v15
	v_fmac_f32_e32 v6, v6, v14
	v_fma_f32 v12, v12, v17, 1.0
	v_cmp_eq_u32_e32 vcc, 0, v16
	v_fmac_f32_e32 v8, v8, v15
	v_fma_f32 v13, v19, v13, 1.0
	v_cndmask_b32_e64 v6, -v6, v12, vcc
	v_cmp_eq_u32_e32 vcc, 0, v9
	v_lshlrev_b32_e32 v7, 30, v7
	v_cndmask_b32_e32 v8, v13, v8, vcc
	v_and_b32_e32 v7, 0x80000000, v7
	v_xor_b32_e32 v8, v5, v8
	v_add_co_u32_e32 v5, vcc, s0, v0
	s_movk_i32 s1, 0x1f8
	v_xor_b32_e32 v7, v7, v6
	v_addc_co_u32_e32 v6, vcc, v1, v11, vcc
	v_mov_b32_e32 v18, 0x7fc00000
	v_cmp_class_f32_e64 vcc, v3, s1
	v_cndmask_b32_e32 v3, v18, v7, vcc
	v_cndmask_b32_e32 v7, v18, v8, vcc
	v_mul_f32_e32 v3, v4, v3
	v_mul_f32_e64 v4, v7, -v4
	s_waitcnt vmcnt(1)
	v_cvt_f32_f16_e32 v8, v10
	v_mul_f32_e32 v7, v4, v8
	s_waitcnt vmcnt(0)
	v_cvt_f32_f16_e32 v9, v2
	v_fma_mixlo_f16 v2, v3, v2, v7 op_sel_hi:[0,1,0]
	v_mul_f32_e32 v4, v4, v9
	v_fma_mixlo_f16 v3, v3, v10, -v4 op_sel_hi:[0,1,0]
	global_store_short v[0:1], v3, off
	global_store_short v[5:6], v2, off
.LBB28_44:
	s_endpgm
	.section	.rodata,"a",@progbits
	.p2align	6, 0x0
	.amdhsa_kernel _ZL10rope_multiILb0ELb0E6__halfEvPKT1_PS1_iiiiiiiiiiPKifff14rope_corr_dimsfPKf14mrope_sectionsb
		.amdhsa_group_segment_fixed_size 0
		.amdhsa_private_segment_fixed_size 0
		.amdhsa_kernarg_size 376
		.amdhsa_user_sgpr_count 6
		.amdhsa_user_sgpr_private_segment_buffer 1
		.amdhsa_user_sgpr_dispatch_ptr 0
		.amdhsa_user_sgpr_queue_ptr 0
		.amdhsa_user_sgpr_kernarg_segment_ptr 1
		.amdhsa_user_sgpr_dispatch_id 0
		.amdhsa_user_sgpr_flat_scratch_init 0
		.amdhsa_user_sgpr_private_segment_size 0
		.amdhsa_uses_dynamic_stack 0
		.amdhsa_system_sgpr_private_segment_wavefront_offset 0
		.amdhsa_system_sgpr_workgroup_id_x 1
		.amdhsa_system_sgpr_workgroup_id_y 1
		.amdhsa_system_sgpr_workgroup_id_z 0
		.amdhsa_system_sgpr_workgroup_info 0
		.amdhsa_system_vgpr_workitem_id 1
		.amdhsa_next_free_vgpr 20
		.amdhsa_next_free_sgpr 32
		.amdhsa_reserve_vcc 1
		.amdhsa_reserve_flat_scratch 0
		.amdhsa_float_round_mode_32 0
		.amdhsa_float_round_mode_16_64 0
		.amdhsa_float_denorm_mode_32 3
		.amdhsa_float_denorm_mode_16_64 3
		.amdhsa_dx10_clamp 1
		.amdhsa_ieee_mode 1
		.amdhsa_fp16_overflow 0
		.amdhsa_exception_fp_ieee_invalid_op 0
		.amdhsa_exception_fp_denorm_src 0
		.amdhsa_exception_fp_ieee_div_zero 0
		.amdhsa_exception_fp_ieee_overflow 0
		.amdhsa_exception_fp_ieee_underflow 0
		.amdhsa_exception_fp_ieee_inexact 0
		.amdhsa_exception_int_div_zero 0
	.end_amdhsa_kernel
	.section	.text._ZL10rope_multiILb0ELb0E6__halfEvPKT1_PS1_iiiiiiiiiiPKifff14rope_corr_dimsfPKf14mrope_sectionsb,"axG",@progbits,_ZL10rope_multiILb0ELb0E6__halfEvPKT1_PS1_iiiiiiiiiiPKifff14rope_corr_dimsfPKf14mrope_sectionsb,comdat
.Lfunc_end28:
	.size	_ZL10rope_multiILb0ELb0E6__halfEvPKT1_PS1_iiiiiiiiiiPKifff14rope_corr_dimsfPKf14mrope_sectionsb, .Lfunc_end28-_ZL10rope_multiILb0ELb0E6__halfEvPKT1_PS1_iiiiiiiiiiPKifff14rope_corr_dimsfPKf14mrope_sectionsb
                                        ; -- End function
	.set _ZL10rope_multiILb0ELb0E6__halfEvPKT1_PS1_iiiiiiiiiiPKifff14rope_corr_dimsfPKf14mrope_sectionsb.num_vgpr, 20
	.set _ZL10rope_multiILb0ELb0E6__halfEvPKT1_PS1_iiiiiiiiiiPKifff14rope_corr_dimsfPKf14mrope_sectionsb.num_agpr, 0
	.set _ZL10rope_multiILb0ELb0E6__halfEvPKT1_PS1_iiiiiiiiiiPKifff14rope_corr_dimsfPKf14mrope_sectionsb.numbered_sgpr, 32
	.set _ZL10rope_multiILb0ELb0E6__halfEvPKT1_PS1_iiiiiiiiiiPKifff14rope_corr_dimsfPKf14mrope_sectionsb.num_named_barrier, 0
	.set _ZL10rope_multiILb0ELb0E6__halfEvPKT1_PS1_iiiiiiiiiiPKifff14rope_corr_dimsfPKf14mrope_sectionsb.private_seg_size, 0
	.set _ZL10rope_multiILb0ELb0E6__halfEvPKT1_PS1_iiiiiiiiiiPKifff14rope_corr_dimsfPKf14mrope_sectionsb.uses_vcc, 1
	.set _ZL10rope_multiILb0ELb0E6__halfEvPKT1_PS1_iiiiiiiiiiPKifff14rope_corr_dimsfPKf14mrope_sectionsb.uses_flat_scratch, 0
	.set _ZL10rope_multiILb0ELb0E6__halfEvPKT1_PS1_iiiiiiiiiiPKifff14rope_corr_dimsfPKf14mrope_sectionsb.has_dyn_sized_stack, 0
	.set _ZL10rope_multiILb0ELb0E6__halfEvPKT1_PS1_iiiiiiiiiiPKifff14rope_corr_dimsfPKf14mrope_sectionsb.has_recursion, 0
	.set _ZL10rope_multiILb0ELb0E6__halfEvPKT1_PS1_iiiiiiiiiiPKifff14rope_corr_dimsfPKf14mrope_sectionsb.has_indirect_call, 0
	.section	.AMDGPU.csdata,"",@progbits
; Kernel info:
; codeLenInByte = 10188
; TotalNumSgprs: 36
; NumVgprs: 20
; ScratchSize: 0
; MemoryBound: 0
; FloatMode: 240
; IeeeMode: 1
; LDSByteSize: 0 bytes/workgroup (compile time only)
; SGPRBlocks: 4
; VGPRBlocks: 4
; NumSGPRsForWavesPerEU: 36
; NumVGPRsForWavesPerEU: 20
; Occupancy: 10
; WaveLimiterHint : 0
; COMPUTE_PGM_RSRC2:SCRATCH_EN: 0
; COMPUTE_PGM_RSRC2:USER_SGPR: 6
; COMPUTE_PGM_RSRC2:TRAP_HANDLER: 0
; COMPUTE_PGM_RSRC2:TGID_X_EN: 1
; COMPUTE_PGM_RSRC2:TGID_Y_EN: 1
; COMPUTE_PGM_RSRC2:TGID_Z_EN: 0
; COMPUTE_PGM_RSRC2:TIDIG_COMP_CNT: 1
	.section	.text._ZL10rope_multiILb0ELb1E6__halfEvPKT1_PS1_iiiiiiiiiiPKifff14rope_corr_dimsfPKf14mrope_sectionsb,"axG",@progbits,_ZL10rope_multiILb0ELb1E6__halfEvPKT1_PS1_iiiiiiiiiiPKifff14rope_corr_dimsfPKf14mrope_sectionsb,comdat
	.globl	_ZL10rope_multiILb0ELb1E6__halfEvPKT1_PS1_iiiiiiiiiiPKifff14rope_corr_dimsfPKf14mrope_sectionsb ; -- Begin function _ZL10rope_multiILb0ELb1E6__halfEvPKT1_PS1_iiiiiiiiiiPKifff14rope_corr_dimsfPKf14mrope_sectionsb
	.p2align	8
	.type	_ZL10rope_multiILb0ELb1E6__halfEvPKT1_PS1_iiiiiiiiiiPKifff14rope_corr_dimsfPKf14mrope_sectionsb,@function
_ZL10rope_multiILb0ELb1E6__halfEvPKT1_PS1_iiiiiiiiiiPKifff14rope_corr_dimsfPKf14mrope_sectionsb: ; @_ZL10rope_multiILb0ELb1E6__halfEvPKT1_PS1_iiiiiiiiiiPKifff14rope_corr_dimsfPKf14mrope_sectionsb
; %bb.0:
	s_load_dword s2, s[4:5], 0x84
	s_load_dwordx8 s[8:15], s[4:5], 0x10
	s_add_u32 s0, s4, 0x78
	s_addc_u32 s1, s5, 0
	s_waitcnt lgkmcnt(0)
	s_lshr_b32 s2, s2, 16
	s_mul_i32 s7, s7, s2
	v_add_lshl_u32 v6, s7, v1, 1
	v_cmp_gt_i32_e32 vcc, s8, v6
	s_and_saveexec_b64 s[2:3], vcc
	s_cbranch_execz .LBB29_44
; %bb.1:
	s_mul_i32 s2, s10, s9
	s_abs_i32 s3, s2
	v_cvt_f32_u32_e32 v1, s3
	s_load_dword s0, s[0:1], 0xc
	s_sub_i32 s1, 0, s3
	v_cvt_f32_u32_e32 v2, s9
	v_rcp_iflag_f32_e32 v1, v1
	s_load_dwordx2 s[24:25], s[4:5], 0x30
	s_load_dwordx4 s[16:19], s[4:5], 0x0
	s_waitcnt lgkmcnt(0)
	s_and_b32 s0, s0, 0xffff
	s_mul_i32 s6, s6, s0
	v_mul_f32_e32 v1, 0x4f7ffffe, v1
	v_cvt_u32_f32_e32 v1, v1
	v_add_u32_e32 v0, s6, v0
	v_sub_u32_e32 v4, 0, v0
	v_max_i32_e32 v4, v0, v4
	v_mul_lo_u32 v3, s1, v1
	v_rcp_iflag_f32_e32 v2, v2
	s_sub_i32 s0, 0, s9
	v_xor_b32_e32 v5, s2, v0
	v_mul_hi_u32 v3, v1, v3
	v_mul_f32_e32 v2, 0x4f7ffffe, v2
	v_cvt_u32_f32_e32 v2, v2
	v_ashrrev_i32_e32 v5, 31, v5
	v_add_u32_e32 v1, v1, v3
	v_mul_hi_u32 v1, v4, v1
	v_mul_lo_u32 v3, s0, v2
	v_mul_lo_u32 v7, v1, s3
	v_add_u32_e32 v8, 1, v1
	v_mul_hi_u32 v3, v2, v3
	v_sub_u32_e32 v4, v4, v7
	v_cmp_le_u32_e32 vcc, s3, v4
	v_subrev_u32_e32 v7, s3, v4
	v_cndmask_b32_e32 v1, v1, v8, vcc
	v_cndmask_b32_e32 v4, v4, v7, vcc
	v_add_u32_e32 v7, 1, v1
	v_cmp_le_u32_e32 vcc, s3, v4
	v_cndmask_b32_e32 v1, v1, v7, vcc
	v_xor_b32_e32 v1, v1, v5
	v_sub_u32_e32 v5, v1, v5
	v_mul_lo_u32 v1, s2, v5
	v_add_u32_e32 v2, v2, v3
	v_sub_u32_e32 v3, v0, v1
	v_mul_hi_u32 v0, v3, v2
	v_ashrrev_i32_e32 v2, 1, v6
	v_mul_lo_u32 v1, v0, s9
	v_add_u32_e32 v4, 1, v0
	v_sub_u32_e32 v1, v3, v1
	v_cmp_le_u32_e32 vcc, s9, v1
	v_cndmask_b32_e32 v0, v0, v4, vcc
	v_subrev_u32_e32 v4, s9, v1
	v_cndmask_b32_e32 v1, v1, v4, vcc
	v_add_u32_e32 v4, 1, v0
	v_cmp_le_u32_e32 vcc, s9, v1
	v_cndmask_b32_e32 v4, v0, v4, vcc
	v_mul_lo_u32 v7, v4, s9
	v_mad_u64_u32 v[0:1], s[0:1], v5, s24, v[2:3]
	v_mul_lo_u32 v1, v4, s15
	v_sub_u32_e32 v3, v3, v7
	v_mul_lo_u32 v9, v3, s14
	v_mul_lo_u32 v3, v3, s11
	;; [unrolled: 1-line block ×3, first 2 shown]
	v_cmp_le_i32_e32 vcc, s25, v6
	v_add3_u32 v0, v0, v1, v9
	v_mad_u64_u32 v[7:8], s[0:1], v5, s13, v[2:3]
	v_add3_u32 v1, v7, v10, v3
	s_and_saveexec_b64 s[0:1], vcc
	s_xor_b64 s[0:1], exec, s[0:1]
	s_cbranch_execz .LBB29_3
; %bb.2:
	v_add_u32_e32 v3, v1, v2
	v_ashrrev_i32_e32 v4, 31, v3
	v_lshlrev_b64 v[3:4], 1, v[3:4]
	v_mov_b32_e32 v1, s17
	v_add_co_u32_e32 v3, vcc, s16, v3
	v_addc_co_u32_e32 v4, vcc, v1, v4, vcc
	global_load_ushort v5, v[3:4], off
	v_add_u32_e32 v0, v0, v2
	v_ashrrev_i32_e32 v1, 31, v0
	v_lshlrev_b64 v[0:1], 1, v[0:1]
	v_mov_b32_e32 v2, s19
	v_add_co_u32_e32 v0, vcc, s18, v0
	v_addc_co_u32_e32 v1, vcc, v2, v1, vcc
                                        ; implicit-def: $vgpr6
	s_waitcnt vmcnt(0)
	global_store_short v[0:1], v5, off
	global_load_ushort v2, v[3:4], off offset:2
                                        ; implicit-def: $vgpr4
	s_waitcnt vmcnt(0)
	global_store_short v[0:1], v2, off offset:2
                                        ; implicit-def: $vgpr1
                                        ; implicit-def: $vgpr0
                                        ; implicit-def: $vgpr2
.LBB29_3:
	s_andn2_saveexec_b64 s[0:1], s[0:1]
	s_cbranch_execz .LBB29_44
; %bb.4:
	s_load_dwordx4 s[20:23], s[4:5], 0x60
	s_load_dwordx2 s[8:9], s[4:5], 0x50
	v_sub_u32_e32 v7, 0, v2
	v_max_i32_e32 v7, v2, v7
	s_waitcnt lgkmcnt(0)
	s_add_i32 s1, s21, s20
	s_add_i32 s0, s1, s22
	;; [unrolled: 1-line block ×3, first 2 shown]
	s_abs_i32 s2, s2
	v_cvt_f32_u32_e32 v3, s2
	s_sub_i32 s3, 0, s2
	v_rcp_iflag_f32_e32 v3, v3
	v_mul_f32_e32 v3, 0x4f7ffffe, v3
	v_cvt_u32_f32_e32 v3, v3
	v_mul_lo_u32 v5, s3, v3
	s_load_dword s3, s[4:5], 0x70
	s_load_dwordx2 s[26:27], s[4:5], 0x38
	s_load_dwordx4 s[12:15], s[4:5], 0x40
	s_waitcnt lgkmcnt(0)
	s_and_b32 s3, s3, 1
	v_mul_hi_u32 v5, v3, v5
	s_cmp_eq_u32 s3, 0
	v_add_u32_e32 v3, v3, v5
	v_mul_hi_u32 v3, v7, v3
	v_mul_lo_u32 v5, v3, s2
	v_ashrrev_i32_e32 v3, 31, v2
	v_sub_u32_e32 v5, v7, v5
	v_subrev_u32_e32 v7, s2, v5
	v_cmp_le_u32_e32 vcc, s2, v5
	v_cndmask_b32_e32 v5, v5, v7, vcc
	v_subrev_u32_e32 v7, s2, v5
	v_cmp_le_u32_e32 vcc, s2, v5
	v_cndmask_b32_e32 v5, v5, v7, vcc
	v_xor_b32_e32 v5, v5, v3
	v_sub_u32_e32 v7, v5, v3
	s_cbranch_scc0 .LBB29_18
; %bb.5:
	v_cmp_le_i32_e32 vcc, s20, v7
                                        ; implicit-def: $vgpr5
	s_and_saveexec_b64 s[2:3], vcc
	s_xor_b64 s[28:29], exec, s[2:3]
	s_cbranch_execz .LBB29_15
; %bb.6:
	v_cmp_le_i32_e32 vcc, s1, v7
                                        ; implicit-def: $vgpr5
	s_and_saveexec_b64 s[2:3], vcc
	s_xor_b64 s[30:31], exec, s[2:3]
	s_cbranch_execz .LBB29_12
; %bb.7:
	v_cvt_f32_i32_e32 v5, v6
	v_cmp_le_i32_e32 vcc, s0, v7
	v_cmp_neq_f32_e64 s[0:1], s9, 1.0
	v_mov_b32_e32 v9, s9
	v_mul_f32_e32 v5, 0.5, v5
	v_cndmask_b32_e64 v8, 1.0, v5, s[0:1]
	v_cmp_neq_f32_e64 s[0:1], 0, v8
	v_cndmask_b32_e64 v5, 1.0, v9, s[0:1]
	v_frexp_mant_f32_e64 v9, |v5|
	s_mov_b32 s0, 0x3f2aaaab
	v_cmp_gt_f32_e64 s[0:1], s0, v9
	v_cndmask_b32_e64 v10, 1.0, 2.0, s[0:1]
	v_mul_f32_e32 v9, v9, v10
	v_add_f32_e32 v10, 1.0, v9
	v_rcp_f32_e32 v11, v10
	v_add_f32_e32 v12, -1.0, v9
	v_add_f32_e32 v13, -1.0, v10
	v_sub_f32_e32 v9, v9, v13
	v_mul_f32_e32 v13, v12, v11
	v_mul_f32_e32 v14, v10, v13
	v_fma_f32 v10, v13, v10, -v14
	v_fmac_f32_e32 v10, v13, v9
	v_add_f32_e32 v9, v14, v10
	v_sub_f32_e32 v15, v12, v9
	v_sub_f32_e32 v14, v9, v14
	;; [unrolled: 1-line block ×5, first 2 shown]
	v_add_f32_e32 v9, v10, v9
	v_add_f32_e32 v9, v15, v9
	v_mul_f32_e32 v9, v11, v9
	v_add_f32_e32 v11, v13, v9
	v_sub_f32_e32 v10, v11, v13
	v_sub_f32_e32 v12, v9, v10
	v_mul_f32_e32 v9, v11, v11
	v_fma_f32 v10, v11, v11, -v9
	v_add_f32_e32 v13, v12, v12
	v_fmac_f32_e32 v10, v11, v13
	v_add_f32_e32 v13, v9, v10
	v_mov_b32_e32 v14, 0x3e91f4c4
	v_sub_f32_e32 v9, v13, v9
	v_fmac_f32_e32 v14, 0x3e76c4e1, v13
	v_mov_b32_e32 v15, 0x3ecccdef
	v_sub_f32_e32 v9, v10, v9
	v_mul_f32_e32 v10, v11, v13
	v_fmac_f32_e32 v15, v13, v14
	v_fma_f32 v14, v13, v11, -v10
	v_fmac_f32_e32 v14, v13, v12
	v_fmac_f32_e32 v14, v9, v11
	v_add_f32_e32 v16, v10, v14
	v_sub_f32_e32 v10, v16, v10
	v_sub_f32_e32 v14, v14, v10
	v_mul_f32_e32 v10, v13, v15
	v_fma_f32 v13, v13, v15, -v10
	v_fmac_f32_e32 v13, v9, v15
	v_add_f32_e32 v15, v10, v13
	v_sub_f32_e32 v9, v15, v10
	v_sub_f32_e32 v13, v13, v9
	v_cvt_f64_f32_e64 v[9:10], |v5|
	v_add_f32_e32 v17, 0x3f2aaaaa, v15
	v_add_f32_e32 v18, 0xbf2aaaaa, v17
	;; [unrolled: 1-line block ×3, first 2 shown]
	v_frexp_exp_i32_f64_e32 v9, v[9:10]
	v_sub_f32_e32 v15, v15, v18
	v_add_f32_e32 v10, v13, v15
	v_add_f32_e32 v13, v17, v10
	v_sub_f32_e32 v15, v17, v13
	v_add_f32_e32 v10, v10, v15
	v_mul_f32_e32 v15, v16, v13
	v_fma_f32 v17, v16, v13, -v15
	v_subbrev_co_u32_e64 v9, s[0:1], 0, v9, s[0:1]
	v_cvt_f32_i32_e32 v9, v9
	v_fmac_f32_e32 v17, v16, v10
	s_mov_b32 s0, 0x3f317218
	v_fmac_f32_e32 v17, v14, v13
	v_mul_f32_e32 v10, 0x3f317218, v9
	v_fma_f32 v13, v9, s0, -v10
	v_fmac_f32_e32 v13, 0xb102e308, v9
	v_ldexp_f32 v9, v12, 1
	v_add_f32_e32 v12, v10, v13
	v_sub_f32_e32 v10, v12, v10
	v_ldexp_f32 v11, v11, 1
	v_sub_f32_e32 v10, v13, v10
	v_add_f32_e32 v13, v15, v17
	v_sub_f32_e32 v14, v13, v15
	v_add_f32_e32 v15, v11, v13
	v_sub_f32_e32 v14, v17, v14
	v_sub_f32_e32 v11, v15, v11
	;; [unrolled: 1-line block ×3, first 2 shown]
	v_add_f32_e32 v9, v9, v14
	v_add_f32_e32 v9, v9, v11
	;; [unrolled: 1-line block ×3, first 2 shown]
	v_sub_f32_e32 v13, v11, v15
	v_sub_f32_e32 v9, v9, v13
	v_add_f32_e32 v13, v12, v11
	v_sub_f32_e32 v14, v13, v12
	v_sub_f32_e32 v15, v13, v14
	;; [unrolled: 1-line block ×4, first 2 shown]
	v_add_f32_e32 v11, v11, v12
	v_add_f32_e32 v12, v10, v9
	v_sub_f32_e32 v14, v12, v10
	v_sub_f32_e32 v15, v12, v14
	;; [unrolled: 1-line block ×4, first 2 shown]
	v_add_f32_e32 v9, v9, v10
	v_add_f32_e32 v10, v12, v11
	;; [unrolled: 1-line block ×3, first 2 shown]
	v_sub_f32_e32 v12, v11, v13
	v_sub_f32_e32 v10, v10, v12
	v_add_f32_e32 v9, v9, v10
	v_add_f32_e32 v10, v11, v9
	v_sub_f32_e32 v11, v10, v11
	v_sub_f32_e32 v9, v9, v11
	v_mul_f32_e32 v11, v8, v10
	v_fma_f32 v10, v8, v10, -v11
	v_fmac_f32_e32 v10, v8, v9
	s_movk_i32 s11, 0x204
	v_add_f32_e32 v9, v11, v10
	v_cmp_class_f32_e64 s[0:1], v11, s11
	v_sub_f32_e32 v12, v9, v11
	v_cndmask_b32_e64 v9, v9, v11, s[0:1]
	s_mov_b32 s3, 0x42b17218
	v_mov_b32_e32 v11, 0x37000000
	v_cmp_eq_f32_e64 s[0:1], s3, v9
	v_cndmask_b32_e64 v11, 0, v11, s[0:1]
	v_sub_f32_e32 v10, v10, v12
	v_sub_f32_e32 v12, v9, v11
	s_mov_b32 s0, 0x3fb8aa3b
	v_mul_f32_e32 v13, 0x3fb8aa3b, v12
	v_fma_f32 v14, v12, s0, -v13
	v_rndne_f32_e32 v15, v13
	v_fmac_f32_e32 v14, 0x32a5705f, v12
	v_sub_f32_e32 v13, v13, v15
	v_add_f32_e32 v13, v13, v14
	v_exp_f32_e32 v13, v13
	v_cvt_i32_f32_e32 v14, v15
	s_mov_b32 s2, 0x7f800000
	v_cmp_neq_f32_e64 s[0:1], |v9|, s2
	v_cndmask_b32_e64 v9, 0, v10, s[0:1]
	s_mov_b32 s0, 0xc2ce8ed0
	v_ldexp_f32 v10, v13, v14
	v_cmp_ngt_f32_e64 s[0:1], s0, v12
	v_add_f32_e32 v9, v11, v9
	v_cndmask_b32_e64 v10, 0, v10, s[0:1]
	v_mov_b32_e32 v11, 0x7f800000
	v_cmp_nlt_f32_e64 s[0:1], s3, v12
	v_cndmask_b32_e64 v10, v11, v10, s[0:1]
	v_fma_f32 v9, v10, v9, v10
	v_cmp_class_f32_e64 s[0:1], v10, s11
	v_cndmask_b32_e64 v9, v9, v10, s[0:1]
	v_trunc_f32_e32 v10, v8
	v_cmp_eq_f32_e64 s[0:1], v10, v8
	v_mul_f32_e32 v10, 0.5, v8
	v_trunc_f32_e32 v13, v10
	v_cmp_neq_f32_e64 s[2:3], v13, v10
	s_and_b64 s[2:3], s[0:1], s[2:3]
	v_cndmask_b32_e64 v10, 1.0, v5, s[2:3]
	s_brev_b32 s23, -2
	v_mov_b32_e32 v12, 0x7fc00000
	v_bfi_b32 v9, s23, v9, v10
	v_cndmask_b32_e64 v10, v12, v9, s[0:1]
	v_cmp_gt_f32_e64 s[0:1], 0, v5
	v_cndmask_b32_e64 v9, v9, v10, s[0:1]
	v_cmp_neq_f32_e64 s[0:1], v8, |v8|
	v_cmp_lt_f32_e64 s[6:7], |v5|, 1.0
	s_xor_b64 s[0:1], s[0:1], s[6:7]
	v_cndmask_b32_e64 v10, v11, 0, s[0:1]
	v_cmp_neq_f32_e64 s[0:1], |v5|, 1.0
	v_cndmask_b32_e64 v10, 1.0, v10, s[0:1]
	v_cmp_class_f32_e64 s[0:1], v8, s11
	v_cndmask_b32_e64 v9, v9, v10, s[0:1]
	v_cmp_eq_f32_e64 s[0:1], 0, v5
	v_cmp_gt_f32_e64 s[6:7], 0, v8
	s_xor_b64 s[6:7], s[6:7], s[0:1]
	v_cmp_class_f32_e64 s[34:35], v5, s11
	v_cndmask_b32_e64 v8, v11, 0, s[6:7]
	v_cndmask_b32_e64 v10, 0, v5, s[2:3]
	v_bfi_b32 v8, s23, v8, v10
	s_or_b64 s[0:1], s[0:1], s[34:35]
	v_cndmask_b32_e64 v8, v9, v8, s[0:1]
	v_cmp_o_f32_e64 s[0:1], v5, v5
	v_cndmask_b32_e64 v8, v12, v8, s[0:1]
                                        ; implicit-def: $vgpr5
	s_and_saveexec_b64 s[0:1], vcc
	s_xor_b64 s[0:1], exec, s[0:1]
	s_cbranch_execz .LBB29_9
; %bb.8:
	v_mad_u64_u32 v[9:10], s[2:3], s10, 3, v[4:5]
	v_mov_b32_e32 v10, 0
	v_mov_b32_e32 v5, s27
	v_lshlrev_b64 v[9:10], 2, v[9:10]
	v_add_co_u32_e32 v9, vcc, s26, v9
	v_addc_co_u32_e32 v10, vcc, v5, v10, vcc
	global_load_dword v5, v[9:10], off
	s_waitcnt vmcnt(0)
	v_cvt_f32_i32_e32 v5, v5
	v_mul_f32_e32 v5, v8, v5
                                        ; implicit-def: $vgpr8
.LBB29_9:
	s_andn2_saveexec_b64 s[0:1], s[0:1]
	s_cbranch_execz .LBB29_11
; %bb.10:
	v_lshl_add_u32 v9, s10, 1, v4
	v_mov_b32_e32 v10, 0
	v_lshlrev_b64 v[9:10], 2, v[9:10]
	v_mov_b32_e32 v5, s27
	v_add_co_u32_e32 v9, vcc, s26, v9
	v_addc_co_u32_e32 v10, vcc, v5, v10, vcc
	global_load_dword v5, v[9:10], off
	s_waitcnt vmcnt(0)
	v_cvt_f32_i32_e32 v5, v5
	v_mul_f32_e32 v5, v8, v5
.LBB29_11:
	s_or_b64 exec, exec, s[0:1]
.LBB29_12:
	s_andn2_saveexec_b64 s[6:7], s[30:31]
	s_cbranch_execz .LBB29_14
; %bb.13:
	v_add_u32_e32 v8, s10, v4
	v_mov_b32_e32 v9, 0
	v_lshlrev_b64 v[8:9], 2, v[8:9]
	v_mov_b32_e32 v5, s27
	v_add_co_u32_e32 v8, vcc, s26, v8
	v_addc_co_u32_e32 v9, vcc, v5, v9, vcc
	v_cvt_f32_i32_e32 v5, v6
	v_cmp_neq_f32_e64 vcc, s9, 1.0
	global_load_dword v9, v[8:9], off
	v_mov_b32_e32 v10, s9
	v_mul_f32_e32 v5, 0.5, v5
	v_cndmask_b32_e32 v8, 1.0, v5, vcc
	v_cmp_neq_f32_e32 vcc, 0, v8
	v_cndmask_b32_e32 v5, 1.0, v10, vcc
	s_mov_b32 s0, 0x3f2aaaab
	v_frexp_mant_f32_e64 v14, |v5|
	v_cmp_gt_f32_e32 vcc, s0, v14
	v_cndmask_b32_e64 v15, 1.0, 2.0, vcc
	v_mul_f32_e32 v14, v14, v15
	v_add_f32_e32 v16, 1.0, v14
	v_cvt_f64_f32_e64 v[10:11], |v5|
	v_rcp_f32_e32 v17, v16
	v_add_f32_e32 v15, -1.0, v14
	v_add_f32_e32 v18, -1.0, v16
	v_frexp_exp_i32_f64_e32 v10, v[10:11]
	v_sub_f32_e32 v11, v14, v18
	v_mul_f32_e32 v14, v15, v17
	v_mul_f32_e32 v18, v16, v14
	v_fma_f32 v16, v14, v16, -v18
	v_fmac_f32_e32 v16, v14, v11
	v_add_f32_e32 v11, v18, v16
	v_sub_f32_e32 v19, v15, v11
	v_sub_f32_e32 v18, v11, v18
	;; [unrolled: 1-line block ×5, first 2 shown]
	v_add_f32_e32 v11, v16, v11
	v_add_f32_e32 v11, v19, v11
	v_mul_f32_e32 v11, v17, v11
	v_add_f32_e32 v15, v14, v11
	v_sub_f32_e32 v14, v15, v14
	v_mul_f32_e32 v16, v15, v15
	v_sub_f32_e32 v11, v11, v14
	v_fma_f32 v14, v15, v15, -v16
	v_add_f32_e32 v17, v11, v11
	v_fmac_f32_e32 v14, v15, v17
	v_mov_b32_e32 v12, 0x3e91f4c4
	v_add_f32_e32 v17, v16, v14
	v_mov_b32_e32 v13, 0x3ecccdef
	v_fmac_f32_e32 v12, 0x3e76c4e1, v17
	v_sub_f32_e32 v16, v17, v16
	v_mul_f32_e32 v18, v15, v17
	v_fmac_f32_e32 v13, v17, v12
	v_sub_f32_e32 v12, v14, v16
	v_fma_f32 v14, v17, v15, -v18
	v_fmac_f32_e32 v14, v17, v11
	v_mul_f32_e32 v16, v17, v13
	v_fmac_f32_e32 v14, v12, v15
	v_fma_f32 v17, v17, v13, -v16
	v_add_f32_e32 v19, v18, v14
	v_fmac_f32_e32 v17, v12, v13
	v_sub_f32_e32 v12, v19, v18
	v_add_f32_e32 v13, v16, v17
	v_sub_f32_e32 v12, v14, v12
	v_add_f32_e32 v14, 0x3f2aaaaa, v13
	v_sub_f32_e32 v16, v13, v16
	v_sub_f32_e32 v16, v17, v16
	v_add_f32_e32 v17, 0xbf2aaaaa, v14
	v_add_f32_e32 v16, 0x31739010, v16
	v_sub_f32_e32 v13, v13, v17
	v_subbrev_co_u32_e32 v10, vcc, 0, v10, vcc
	v_add_f32_e32 v13, v16, v13
	v_cvt_f32_i32_e32 v10, v10
	v_add_f32_e32 v16, v14, v13
	v_sub_f32_e32 v14, v14, v16
	v_mul_f32_e32 v17, v19, v16
	v_add_f32_e32 v13, v13, v14
	v_fma_f32 v14, v19, v16, -v17
	v_fmac_f32_e32 v14, v19, v13
	s_mov_b32 s1, 0x3f317218
	v_fmac_f32_e32 v14, v12, v16
	v_mul_f32_e32 v12, 0x3f317218, v10
	v_fma_f32 v13, v10, s1, -v12
	v_fmac_f32_e32 v13, 0xb102e308, v10
	v_ldexp_f32 v10, v11, 1
	v_ldexp_f32 v11, v15, 1
	v_add_f32_e32 v15, v12, v13
	v_sub_f32_e32 v12, v15, v12
	v_sub_f32_e32 v12, v13, v12
	v_add_f32_e32 v13, v17, v14
	v_sub_f32_e32 v16, v13, v17
	v_sub_f32_e32 v14, v14, v16
	;; [unrolled: 3-line block ×3, first 2 shown]
	v_add_f32_e32 v10, v10, v14
	v_add_f32_e32 v10, v10, v11
	;; [unrolled: 1-line block ×3, first 2 shown]
	v_sub_f32_e32 v13, v11, v16
	v_sub_f32_e32 v10, v10, v13
	v_add_f32_e32 v13, v15, v11
	v_sub_f32_e32 v14, v13, v15
	v_sub_f32_e32 v16, v13, v14
	;; [unrolled: 1-line block ×4, first 2 shown]
	v_add_f32_e32 v14, v12, v10
	v_add_f32_e32 v11, v11, v15
	v_sub_f32_e32 v15, v14, v12
	v_sub_f32_e32 v16, v14, v15
	;; [unrolled: 1-line block ×4, first 2 shown]
	v_add_f32_e32 v11, v14, v11
	v_add_f32_e32 v10, v10, v12
	;; [unrolled: 1-line block ×3, first 2 shown]
	v_sub_f32_e32 v13, v12, v13
	v_sub_f32_e32 v11, v11, v13
	v_add_f32_e32 v10, v10, v11
	v_add_f32_e32 v11, v12, v10
	v_sub_f32_e32 v12, v11, v12
	v_sub_f32_e32 v10, v10, v12
	v_mul_f32_e32 v12, v8, v11
	v_fma_f32 v11, v8, v11, -v12
	v_fmac_f32_e32 v11, v8, v10
	s_movk_i32 s11, 0x204
	v_add_f32_e32 v10, v12, v11
	v_cmp_class_f32_e64 vcc, v12, s11
	v_sub_f32_e32 v13, v10, v12
	v_cndmask_b32_e32 v10, v10, v12, vcc
	s_mov_b32 s1, 0x42b17218
	v_mov_b32_e32 v12, 0x37000000
	v_cmp_eq_f32_e32 vcc, s1, v10
	v_cndmask_b32_e32 v12, 0, v12, vcc
	v_sub_f32_e32 v11, v11, v13
	v_sub_f32_e32 v13, v10, v12
	s_mov_b32 s2, 0x3fb8aa3b
	v_mul_f32_e32 v14, 0x3fb8aa3b, v13
	v_fma_f32 v15, v13, s2, -v14
	v_rndne_f32_e32 v16, v14
	v_fmac_f32_e32 v15, 0x32a5705f, v13
	v_sub_f32_e32 v14, v14, v16
	v_add_f32_e32 v14, v14, v15
	v_exp_f32_e32 v14, v14
	v_cvt_i32_f32_e32 v15, v16
	s_mov_b32 s0, 0x7f800000
	v_cmp_neq_f32_e64 vcc, |v10|, s0
	s_mov_b32 s0, 0xc2ce8ed0
	v_cndmask_b32_e32 v10, 0, v11, vcc
	v_ldexp_f32 v11, v14, v15
	v_cmp_ngt_f32_e32 vcc, s0, v13
	v_add_f32_e32 v10, v12, v10
	v_cndmask_b32_e32 v11, 0, v11, vcc
	v_mov_b32_e32 v12, 0x7f800000
	v_cmp_nlt_f32_e32 vcc, s1, v13
	v_cndmask_b32_e32 v11, v12, v11, vcc
	v_fma_f32 v10, v11, v10, v11
	v_cmp_class_f32_e64 vcc, v11, s11
	v_cndmask_b32_e32 v10, v10, v11, vcc
	v_trunc_f32_e32 v11, v8
	v_cmp_eq_f32_e32 vcc, v11, v8
	v_mul_f32_e32 v11, 0.5, v8
	v_trunc_f32_e32 v14, v11
	v_cmp_neq_f32_e64 s[0:1], v14, v11
	s_and_b64 s[0:1], vcc, s[0:1]
	v_cndmask_b32_e64 v11, 1.0, v5, s[0:1]
	s_brev_b32 s23, -2
	v_mov_b32_e32 v13, 0x7fc00000
	v_bfi_b32 v10, s23, v10, v11
	v_cmp_neq_f32_e64 s[2:3], v8, |v8|
	v_cmp_lt_f32_e64 s[30:31], |v5|, 1.0
	v_cndmask_b32_e32 v11, v13, v10, vcc
	v_cmp_gt_f32_e32 vcc, 0, v5
	s_xor_b64 s[2:3], s[2:3], s[30:31]
	v_cndmask_b32_e32 v10, v10, v11, vcc
	v_cndmask_b32_e64 v11, v12, 0, s[2:3]
	v_cmp_neq_f32_e64 vcc, |v5|, 1.0
	v_cndmask_b32_e32 v11, 1.0, v11, vcc
	v_cmp_class_f32_e64 vcc, v8, s11
	v_cndmask_b32_e32 v10, v10, v11, vcc
	v_cmp_eq_f32_e32 vcc, 0, v5
	v_cmp_gt_f32_e64 s[2:3], 0, v8
	s_xor_b64 s[2:3], s[2:3], vcc
	s_waitcnt vmcnt(0)
	v_cvt_f32_i32_e32 v9, v9
	v_cmp_class_f32_e64 s[30:31], v5, s11
	v_cndmask_b32_e64 v8, v12, 0, s[2:3]
	v_cndmask_b32_e64 v11, 0, v5, s[0:1]
	v_bfi_b32 v8, s23, v8, v11
	s_or_b64 vcc, vcc, s[30:31]
	v_cndmask_b32_e32 v8, v10, v8, vcc
	v_cmp_o_f32_e32 vcc, v5, v5
	v_cndmask_b32_e32 v5, v13, v8, vcc
	v_mul_f32_e32 v5, v5, v9
.LBB29_14:
	s_or_b64 exec, exec, s[6:7]
.LBB29_15:
	s_andn2_saveexec_b64 s[6:7], s[28:29]
	s_cbranch_execz .LBB29_17
; %bb.16:
	v_mov_b32_e32 v5, 0
	v_lshlrev_b64 v[8:9], 2, v[4:5]
	v_mov_b32_e32 v5, s27
	v_add_co_u32_e32 v8, vcc, s26, v8
	v_addc_co_u32_e32 v9, vcc, v5, v9, vcc
	v_cvt_f32_i32_e32 v5, v6
	v_cmp_neq_f32_e64 vcc, s9, 1.0
	global_load_dword v9, v[8:9], off
	v_mov_b32_e32 v10, s9
	v_mul_f32_e32 v5, 0.5, v5
	v_cndmask_b32_e32 v8, 1.0, v5, vcc
	v_cmp_neq_f32_e32 vcc, 0, v8
	v_cndmask_b32_e32 v5, 1.0, v10, vcc
	s_mov_b32 s0, 0x3f2aaaab
	v_frexp_mant_f32_e64 v14, |v5|
	v_cmp_gt_f32_e32 vcc, s0, v14
	v_cndmask_b32_e64 v15, 1.0, 2.0, vcc
	v_mul_f32_e32 v14, v14, v15
	v_add_f32_e32 v16, 1.0, v14
	v_cvt_f64_f32_e64 v[10:11], |v5|
	v_rcp_f32_e32 v17, v16
	v_add_f32_e32 v15, -1.0, v14
	v_add_f32_e32 v18, -1.0, v16
	v_frexp_exp_i32_f64_e32 v10, v[10:11]
	v_sub_f32_e32 v11, v14, v18
	v_mul_f32_e32 v14, v15, v17
	v_mul_f32_e32 v18, v16, v14
	v_fma_f32 v16, v14, v16, -v18
	v_fmac_f32_e32 v16, v14, v11
	v_add_f32_e32 v11, v18, v16
	v_sub_f32_e32 v19, v15, v11
	v_sub_f32_e32 v18, v11, v18
	;; [unrolled: 1-line block ×5, first 2 shown]
	v_add_f32_e32 v11, v16, v11
	v_add_f32_e32 v11, v19, v11
	v_mul_f32_e32 v11, v17, v11
	v_add_f32_e32 v16, v14, v11
	v_sub_f32_e32 v14, v16, v14
	v_mul_f32_e32 v17, v16, v16
	v_sub_f32_e32 v11, v11, v14
	v_fma_f32 v14, v16, v16, -v17
	v_add_f32_e32 v18, v11, v11
	v_fmac_f32_e32 v14, v16, v18
	v_mov_b32_e32 v12, 0x3e91f4c4
	v_add_f32_e32 v18, v17, v14
	v_mov_b32_e32 v13, 0x3ecccdef
	v_fmac_f32_e32 v12, 0x3e76c4e1, v18
	v_sub_f32_e32 v17, v18, v17
	v_mul_f32_e32 v19, v16, v18
	v_fmac_f32_e32 v13, v18, v12
	v_sub_f32_e32 v12, v14, v17
	v_fma_f32 v14, v18, v16, -v19
	v_fmac_f32_e32 v14, v18, v11
	v_mul_f32_e32 v17, v18, v13
	v_fmac_f32_e32 v14, v12, v16
	v_fma_f32 v18, v18, v13, -v17
	v_add_f32_e32 v20, v19, v14
	v_fmac_f32_e32 v18, v12, v13
	v_sub_f32_e32 v12, v20, v19
	v_add_f32_e32 v13, v17, v18
	v_sub_f32_e32 v12, v14, v12
	v_add_f32_e32 v14, 0x3f2aaaaa, v13
	v_sub_f32_e32 v17, v13, v17
	v_sub_f32_e32 v17, v18, v17
	v_add_f32_e32 v18, 0xbf2aaaaa, v14
	v_subbrev_co_u32_e32 v10, vcc, 0, v10, vcc
	v_add_f32_e32 v17, 0x31739010, v17
	v_sub_f32_e32 v13, v13, v18
	v_cvt_f32_i32_e32 v10, v10
	v_add_f32_e32 v13, v17, v13
	v_add_f32_e32 v17, v14, v13
	v_sub_f32_e32 v14, v14, v17
	v_mul_f32_e32 v18, v20, v17
	v_add_f32_e32 v13, v13, v14
	v_fma_f32 v14, v20, v17, -v18
	s_mov_b32 s1, 0x3f317218
	v_mul_f32_e32 v15, 0x3f317218, v10
	v_fmac_f32_e32 v14, v20, v13
	v_fmac_f32_e32 v14, v12, v17
	v_fma_f32 v12, v10, s1, -v15
	v_fmac_f32_e32 v12, 0xb102e308, v10
	v_add_f32_e32 v13, v15, v12
	v_sub_f32_e32 v15, v13, v15
	v_sub_f32_e32 v12, v12, v15
	v_add_f32_e32 v15, v18, v14
	v_ldexp_f32 v10, v11, 1
	v_ldexp_f32 v11, v16, 1
	v_sub_f32_e32 v16, v15, v18
	v_sub_f32_e32 v14, v14, v16
	v_add_f32_e32 v16, v11, v15
	v_sub_f32_e32 v11, v16, v11
	v_sub_f32_e32 v11, v15, v11
	v_add_f32_e32 v10, v10, v14
	v_add_f32_e32 v10, v10, v11
	;; [unrolled: 1-line block ×3, first 2 shown]
	v_sub_f32_e32 v14, v11, v16
	v_sub_f32_e32 v10, v10, v14
	v_add_f32_e32 v14, v13, v11
	v_sub_f32_e32 v15, v14, v13
	v_sub_f32_e32 v16, v14, v15
	;; [unrolled: 1-line block ×4, first 2 shown]
	v_add_f32_e32 v11, v11, v13
	v_add_f32_e32 v13, v12, v10
	v_sub_f32_e32 v15, v13, v12
	v_sub_f32_e32 v16, v13, v15
	v_sub_f32_e32 v12, v12, v16
	v_sub_f32_e32 v10, v10, v15
	v_add_f32_e32 v11, v13, v11
	v_add_f32_e32 v10, v10, v12
	;; [unrolled: 1-line block ×3, first 2 shown]
	v_sub_f32_e32 v13, v12, v14
	v_sub_f32_e32 v11, v11, v13
	v_add_f32_e32 v10, v10, v11
	v_add_f32_e32 v11, v12, v10
	v_sub_f32_e32 v12, v11, v12
	v_sub_f32_e32 v10, v10, v12
	v_mul_f32_e32 v12, v8, v11
	v_fma_f32 v11, v8, v11, -v12
	v_fmac_f32_e32 v11, v8, v10
	s_movk_i32 s11, 0x204
	v_add_f32_e32 v10, v12, v11
	v_cmp_class_f32_e64 vcc, v12, s11
	v_sub_f32_e32 v13, v10, v12
	v_cndmask_b32_e32 v10, v10, v12, vcc
	s_mov_b32 s1, 0x42b17218
	v_mov_b32_e32 v12, 0x37000000
	v_cmp_eq_f32_e32 vcc, s1, v10
	v_cndmask_b32_e32 v12, 0, v12, vcc
	v_sub_f32_e32 v11, v11, v13
	v_sub_f32_e32 v13, v10, v12
	s_mov_b32 s2, 0x3fb8aa3b
	v_mul_f32_e32 v14, 0x3fb8aa3b, v13
	v_fma_f32 v15, v13, s2, -v14
	v_rndne_f32_e32 v16, v14
	v_fmac_f32_e32 v15, 0x32a5705f, v13
	v_sub_f32_e32 v14, v14, v16
	v_add_f32_e32 v14, v14, v15
	v_exp_f32_e32 v14, v14
	v_cvt_i32_f32_e32 v15, v16
	s_mov_b32 s0, 0x7f800000
	v_cmp_neq_f32_e64 vcc, |v10|, s0
	s_mov_b32 s0, 0xc2ce8ed0
	v_cndmask_b32_e32 v10, 0, v11, vcc
	v_ldexp_f32 v11, v14, v15
	v_cmp_ngt_f32_e32 vcc, s0, v13
	v_add_f32_e32 v10, v12, v10
	v_cndmask_b32_e32 v11, 0, v11, vcc
	v_mov_b32_e32 v12, 0x7f800000
	v_cmp_nlt_f32_e32 vcc, s1, v13
	v_cndmask_b32_e32 v11, v12, v11, vcc
	v_fma_f32 v10, v11, v10, v11
	v_cmp_class_f32_e64 vcc, v11, s11
	v_cndmask_b32_e32 v10, v10, v11, vcc
	v_trunc_f32_e32 v11, v8
	v_cmp_eq_f32_e32 vcc, v11, v8
	v_mul_f32_e32 v11, 0.5, v8
	v_trunc_f32_e32 v14, v11
	v_cmp_neq_f32_e64 s[0:1], v14, v11
	s_and_b64 s[0:1], vcc, s[0:1]
	v_cndmask_b32_e64 v11, 1.0, v5, s[0:1]
	s_brev_b32 s23, -2
	v_mov_b32_e32 v13, 0x7fc00000
	v_bfi_b32 v10, s23, v10, v11
	v_cmp_neq_f32_e64 s[2:3], v8, |v8|
	v_cmp_lt_f32_e64 s[28:29], |v5|, 1.0
	v_cndmask_b32_e32 v11, v13, v10, vcc
	v_cmp_gt_f32_e32 vcc, 0, v5
	s_xor_b64 s[2:3], s[2:3], s[28:29]
	v_cndmask_b32_e32 v10, v10, v11, vcc
	v_cndmask_b32_e64 v11, v12, 0, s[2:3]
	v_cmp_neq_f32_e64 vcc, |v5|, 1.0
	v_cndmask_b32_e32 v11, 1.0, v11, vcc
	v_cmp_class_f32_e64 vcc, v8, s11
	v_cndmask_b32_e32 v10, v10, v11, vcc
	v_cmp_eq_f32_e32 vcc, 0, v5
	v_cmp_gt_f32_e64 s[2:3], 0, v8
	s_xor_b64 s[2:3], s[2:3], vcc
	s_waitcnt vmcnt(0)
	v_cvt_f32_i32_e32 v9, v9
	v_cmp_class_f32_e64 s[28:29], v5, s11
	v_cndmask_b32_e64 v8, v12, 0, s[2:3]
	v_cndmask_b32_e64 v11, 0, v5, s[0:1]
	v_bfi_b32 v8, s23, v8, v11
	s_or_b64 vcc, vcc, s[28:29]
	v_cndmask_b32_e32 v8, v10, v8, vcc
	v_cmp_o_f32_e32 vcc, v5, v5
	v_cndmask_b32_e32 v5, v13, v8, vcc
	v_mul_f32_e32 v5, v5, v9
.LBB29_17:
	s_or_b64 exec, exec, s[6:7]
	s_cbranch_execz .LBB29_19
	s_branch .LBB29_32
.LBB29_18:
                                        ; implicit-def: $vgpr5
.LBB29_19:
	s_mov_b32 s0, 0x55555556
	v_mul_hi_i32 v5, v7, s0
	s_mul_i32 s0, s21, 3
	v_cmp_le_i32_e64 s[0:1], s0, v7
	v_lshrrev_b32_e32 v8, 31, v5
	v_add_u32_e32 v5, v5, v8
	v_lshl_add_u32 v5, v5, 1, v5
	v_sub_u32_e32 v8, v7, v5
	v_cmp_ne_u32_e32 vcc, 1, v8
	s_or_b64 s[0:1], vcc, s[0:1]
                                        ; implicit-def: $vgpr5
	s_and_saveexec_b64 s[2:3], s[0:1]
	s_xor_b64 s[6:7], exec, s[2:3]
	s_cbranch_execz .LBB29_29
; %bb.20:
	s_mul_i32 s0, s22, 3
	v_cmp_ne_u32_e32 vcc, 2, v8
	v_cmp_le_i32_e64 s[0:1], s0, v7
	s_or_b64 s[0:1], vcc, s[0:1]
                                        ; implicit-def: $vgpr5
	s_and_saveexec_b64 s[2:3], s[0:1]
	s_xor_b64 s[22:23], exec, s[2:3]
	s_cbranch_execz .LBB29_26
; %bb.21:
	s_mul_i32 s0, s20, 3
	v_cmp_ne_u32_e32 vcc, 0, v8
	v_cmp_le_i32_e64 s[0:1], s0, v7
	s_or_b64 s[0:1], vcc, s[0:1]
                                        ; implicit-def: $vgpr5
	s_and_saveexec_b64 s[2:3], s[0:1]
	s_xor_b64 s[20:21], exec, s[2:3]
	s_cbranch_execz .LBB29_23
; %bb.22:
	v_mad_u64_u32 v[4:5], s[0:1], s10, 3, v[4:5]
	v_mov_b32_e32 v5, 0
	v_mov_b32_e32 v7, s27
	v_lshlrev_b64 v[4:5], 2, v[4:5]
	s_mov_b32 s0, 0x3f2aaaab
	v_add_co_u32_e32 v4, vcc, s26, v4
	v_addc_co_u32_e32 v5, vcc, v7, v5, vcc
	global_load_dword v7, v[4:5], off
	v_cvt_f32_i32_e32 v4, v6
	v_cmp_neq_f32_e64 vcc, s9, 1.0
	v_mov_b32_e32 v6, s9
	v_mov_b32_e32 v10, 0x3e91f4c4
	v_mul_f32_e32 v4, 0.5, v4
	v_cndmask_b32_e32 v5, 1.0, v4, vcc
	v_cmp_neq_f32_e32 vcc, 0, v5
	v_cndmask_b32_e32 v4, 1.0, v6, vcc
	v_frexp_mant_f32_e64 v6, |v4|
	v_cmp_gt_f32_e32 vcc, s0, v6
	v_cndmask_b32_e64 v12, 1.0, 2.0, vcc
	v_mul_f32_e32 v6, v6, v12
	v_add_f32_e32 v13, 1.0, v6
	v_cvt_f64_f32_e64 v[8:9], |v4|
	v_rcp_f32_e32 v14, v13
	v_add_f32_e32 v12, -1.0, v6
	v_add_f32_e32 v15, -1.0, v13
	v_frexp_exp_i32_f64_e32 v8, v[8:9]
	v_mul_f32_e32 v9, v12, v14
	v_sub_f32_e32 v6, v6, v15
	v_mul_f32_e32 v15, v13, v9
	v_fma_f32 v13, v9, v13, -v15
	v_fmac_f32_e32 v13, v9, v6
	v_add_f32_e32 v6, v15, v13
	v_sub_f32_e32 v16, v12, v6
	v_sub_f32_e32 v15, v6, v15
	;; [unrolled: 1-line block ×5, first 2 shown]
	v_add_f32_e32 v6, v13, v6
	v_add_f32_e32 v6, v16, v6
	v_mul_f32_e32 v6, v14, v6
	v_add_f32_e32 v14, v9, v6
	v_sub_f32_e32 v9, v14, v9
	v_mul_f32_e32 v15, v14, v14
	v_sub_f32_e32 v6, v6, v9
	v_fma_f32 v9, v14, v14, -v15
	v_add_f32_e32 v16, v6, v6
	v_fmac_f32_e32 v9, v14, v16
	v_add_f32_e32 v16, v15, v9
	v_mov_b32_e32 v11, 0x3ecccdef
	v_fmac_f32_e32 v10, 0x3e76c4e1, v16
	v_mul_f32_e32 v17, v14, v16
	v_sub_f32_e32 v15, v16, v15
	v_fmac_f32_e32 v11, v16, v10
	v_fma_f32 v10, v16, v14, -v17
	v_sub_f32_e32 v9, v9, v15
	v_fmac_f32_e32 v10, v16, v6
	v_mul_f32_e32 v15, v16, v11
	v_fmac_f32_e32 v10, v9, v14
	v_fma_f32 v16, v16, v11, -v15
	v_add_f32_e32 v18, v17, v10
	v_fmac_f32_e32 v16, v9, v11
	v_sub_f32_e32 v9, v18, v17
	v_add_f32_e32 v11, v15, v16
	v_subbrev_co_u32_e32 v8, vcc, 0, v8, vcc
	v_sub_f32_e32 v9, v10, v9
	v_add_f32_e32 v10, 0x3f2aaaaa, v11
	v_sub_f32_e32 v15, v11, v15
	v_cvt_f32_i32_e32 v8, v8
	v_sub_f32_e32 v15, v16, v15
	v_add_f32_e32 v16, 0xbf2aaaaa, v10
	v_add_f32_e32 v15, 0x31739010, v15
	v_sub_f32_e32 v11, v11, v16
	v_add_f32_e32 v11, v15, v11
	v_add_f32_e32 v15, v10, v11
	s_mov_b32 s1, 0x3f317218
	v_mul_f32_e32 v12, 0x3f317218, v8
	v_sub_f32_e32 v10, v10, v15
	v_mul_f32_e32 v16, v18, v15
	v_fma_f32 v13, v8, s1, -v12
	v_add_f32_e32 v10, v11, v10
	v_fma_f32 v11, v18, v15, -v16
	v_fmac_f32_e32 v11, v18, v10
	v_fmac_f32_e32 v13, 0xb102e308, v8
	;; [unrolled: 1-line block ×3, first 2 shown]
	v_add_f32_e32 v9, v12, v13
	v_sub_f32_e32 v10, v9, v12
	v_add_f32_e32 v12, v16, v11
	v_ldexp_f32 v8, v14, 1
	v_sub_f32_e32 v10, v13, v10
	v_sub_f32_e32 v13, v12, v16
	;; [unrolled: 1-line block ×3, first 2 shown]
	v_add_f32_e32 v13, v8, v12
	v_ldexp_f32 v6, v6, 1
	v_sub_f32_e32 v8, v13, v8
	v_sub_f32_e32 v8, v12, v8
	v_add_f32_e32 v6, v6, v11
	v_add_f32_e32 v6, v6, v8
	;; [unrolled: 1-line block ×3, first 2 shown]
	v_sub_f32_e32 v11, v8, v13
	v_sub_f32_e32 v6, v6, v11
	v_add_f32_e32 v11, v9, v8
	v_sub_f32_e32 v12, v11, v9
	v_sub_f32_e32 v13, v11, v12
	v_sub_f32_e32 v9, v9, v13
	v_sub_f32_e32 v8, v8, v12
	v_add_f32_e32 v8, v8, v9
	v_add_f32_e32 v9, v10, v6
	v_sub_f32_e32 v12, v9, v10
	v_sub_f32_e32 v13, v9, v12
	v_add_f32_e32 v8, v9, v8
	v_sub_f32_e32 v10, v10, v13
	v_sub_f32_e32 v6, v6, v12
	v_add_f32_e32 v9, v11, v8
	v_add_f32_e32 v6, v6, v10
	v_sub_f32_e32 v10, v9, v11
	v_sub_f32_e32 v8, v8, v10
	v_add_f32_e32 v6, v6, v8
	v_add_f32_e32 v8, v9, v6
	v_sub_f32_e32 v9, v8, v9
	v_sub_f32_e32 v6, v6, v9
	v_mul_f32_e32 v9, v5, v8
	v_fma_f32 v8, v5, v8, -v9
	v_fmac_f32_e32 v8, v5, v6
	s_movk_i32 s11, 0x204
	v_add_f32_e32 v6, v9, v8
	v_cmp_class_f32_e64 vcc, v9, s11
	v_sub_f32_e32 v10, v6, v9
	v_cndmask_b32_e32 v6, v6, v9, vcc
	s_mov_b32 s1, 0x42b17218
	v_mov_b32_e32 v9, 0x37000000
	v_cmp_eq_f32_e32 vcc, s1, v6
	v_cndmask_b32_e32 v9, 0, v9, vcc
	v_sub_f32_e32 v8, v8, v10
	v_sub_f32_e32 v10, v6, v9
	s_mov_b32 s2, 0x3fb8aa3b
	v_mul_f32_e32 v11, 0x3fb8aa3b, v10
	v_fma_f32 v12, v10, s2, -v11
	v_rndne_f32_e32 v13, v11
	v_fmac_f32_e32 v12, 0x32a5705f, v10
	v_sub_f32_e32 v11, v11, v13
	v_add_f32_e32 v11, v11, v12
	v_exp_f32_e32 v11, v11
	v_cvt_i32_f32_e32 v12, v13
	s_mov_b32 s0, 0x7f800000
	v_cmp_neq_f32_e64 vcc, |v6|, s0
	s_mov_b32 s0, 0xc2ce8ed0
	v_cndmask_b32_e32 v6, 0, v8, vcc
	v_ldexp_f32 v8, v11, v12
	v_cmp_ngt_f32_e32 vcc, s0, v10
	v_add_f32_e32 v6, v9, v6
	v_cndmask_b32_e32 v8, 0, v8, vcc
	v_mov_b32_e32 v9, 0x7f800000
	v_cmp_nlt_f32_e32 vcc, s1, v10
	v_cndmask_b32_e32 v8, v9, v8, vcc
	v_fma_f32 v6, v8, v6, v8
	v_cmp_class_f32_e64 vcc, v8, s11
	v_cndmask_b32_e32 v6, v6, v8, vcc
	v_trunc_f32_e32 v8, v5
	v_cmp_eq_f32_e32 vcc, v8, v5
	v_mul_f32_e32 v8, 0.5, v5
	v_trunc_f32_e32 v11, v8
	v_cmp_neq_f32_e64 s[0:1], v11, v8
	s_and_b64 s[0:1], vcc, s[0:1]
	v_cndmask_b32_e64 v8, 1.0, v4, s[0:1]
	s_brev_b32 s24, -2
	v_mov_b32_e32 v10, 0x7fc00000
	v_bfi_b32 v6, s24, v6, v8
	v_cmp_neq_f32_e64 s[2:3], v5, |v5|
	v_cmp_lt_f32_e64 s[28:29], |v4|, 1.0
	v_cndmask_b32_e32 v8, v10, v6, vcc
	v_cmp_gt_f32_e32 vcc, 0, v4
	s_xor_b64 s[2:3], s[2:3], s[28:29]
	v_cndmask_b32_e32 v6, v6, v8, vcc
	v_cndmask_b32_e64 v8, v9, 0, s[2:3]
	v_cmp_neq_f32_e64 vcc, |v4|, 1.0
	v_cndmask_b32_e32 v8, 1.0, v8, vcc
	v_cmp_class_f32_e64 vcc, v5, s11
	v_cndmask_b32_e32 v6, v6, v8, vcc
	v_cmp_eq_f32_e32 vcc, 0, v4
	v_cmp_gt_f32_e64 s[2:3], 0, v5
	s_xor_b64 s[2:3], s[2:3], vcc
	s_waitcnt vmcnt(0)
	v_cvt_f32_i32_e32 v7, v7
	v_cmp_class_f32_e64 s[28:29], v4, s11
	v_cndmask_b32_e64 v5, v9, 0, s[2:3]
	v_cndmask_b32_e64 v8, 0, v4, s[0:1]
	v_bfi_b32 v5, s24, v5, v8
	s_or_b64 vcc, vcc, s[28:29]
	v_cndmask_b32_e32 v5, v6, v5, vcc
	v_cmp_o_f32_e32 vcc, v4, v4
	v_cndmask_b32_e32 v4, v10, v5, vcc
	v_mul_f32_e32 v5, v4, v7
                                        ; implicit-def: $vgpr4
                                        ; implicit-def: $vgpr6
.LBB29_23:
	s_andn2_saveexec_b64 s[20:21], s[20:21]
	s_cbranch_execz .LBB29_25
; %bb.24:
	v_mov_b32_e32 v5, 0
	v_lshlrev_b64 v[4:5], 2, v[4:5]
	v_mov_b32_e32 v7, s27
	v_add_co_u32_e32 v4, vcc, s26, v4
	v_addc_co_u32_e32 v5, vcc, v7, v5, vcc
	global_load_dword v7, v[4:5], off
	v_cvt_f32_i32_e32 v4, v6
	v_cmp_neq_f32_e64 vcc, s9, 1.0
	v_mov_b32_e32 v6, s9
	s_mov_b32 s0, 0x3f2aaaab
	v_mul_f32_e32 v4, 0.5, v4
	v_cndmask_b32_e32 v5, 1.0, v4, vcc
	v_cmp_neq_f32_e32 vcc, 0, v5
	v_cndmask_b32_e32 v4, 1.0, v6, vcc
	v_frexp_mant_f32_e64 v6, |v4|
	v_cmp_gt_f32_e32 vcc, s0, v6
	v_cndmask_b32_e64 v12, 1.0, 2.0, vcc
	v_mul_f32_e32 v6, v6, v12
	v_add_f32_e32 v13, 1.0, v6
	v_cvt_f64_f32_e64 v[8:9], |v4|
	v_rcp_f32_e32 v14, v13
	v_add_f32_e32 v12, -1.0, v6
	v_add_f32_e32 v15, -1.0, v13
	v_frexp_exp_i32_f64_e32 v8, v[8:9]
	v_mul_f32_e32 v9, v12, v14
	v_sub_f32_e32 v6, v6, v15
	v_mul_f32_e32 v15, v13, v9
	v_fma_f32 v13, v9, v13, -v15
	v_fmac_f32_e32 v13, v9, v6
	v_add_f32_e32 v6, v15, v13
	v_sub_f32_e32 v16, v12, v6
	v_sub_f32_e32 v15, v6, v15
	;; [unrolled: 1-line block ×5, first 2 shown]
	v_add_f32_e32 v6, v13, v6
	v_add_f32_e32 v6, v16, v6
	v_mul_f32_e32 v6, v14, v6
	v_add_f32_e32 v13, v9, v6
	v_sub_f32_e32 v9, v13, v9
	v_mul_f32_e32 v14, v13, v13
	v_sub_f32_e32 v6, v6, v9
	v_fma_f32 v9, v13, v13, -v14
	v_add_f32_e32 v15, v6, v6
	v_fmac_f32_e32 v9, v13, v15
	v_mov_b32_e32 v10, 0x3e91f4c4
	v_add_f32_e32 v15, v14, v9
	v_mov_b32_e32 v11, 0x3ecccdef
	v_fmac_f32_e32 v10, 0x3e76c4e1, v15
	v_mul_f32_e32 v16, v13, v15
	v_sub_f32_e32 v14, v15, v14
	v_fmac_f32_e32 v11, v15, v10
	v_fma_f32 v10, v15, v13, -v16
	v_sub_f32_e32 v9, v9, v14
	v_fmac_f32_e32 v10, v15, v6
	v_mul_f32_e32 v14, v15, v11
	v_fmac_f32_e32 v10, v9, v13
	v_fma_f32 v15, v15, v11, -v14
	v_add_f32_e32 v17, v16, v10
	v_fmac_f32_e32 v15, v9, v11
	v_sub_f32_e32 v9, v17, v16
	v_add_f32_e32 v11, v14, v15
	v_sub_f32_e32 v9, v10, v9
	v_add_f32_e32 v10, 0x3f2aaaaa, v11
	v_sub_f32_e32 v14, v11, v14
	v_sub_f32_e32 v14, v15, v14
	v_add_f32_e32 v15, 0xbf2aaaaa, v10
	v_subbrev_co_u32_e32 v8, vcc, 0, v8, vcc
	v_add_f32_e32 v14, 0x31739010, v14
	v_sub_f32_e32 v11, v11, v15
	v_cvt_f32_i32_e32 v8, v8
	v_add_f32_e32 v11, v14, v11
	v_add_f32_e32 v14, v10, v11
	v_sub_f32_e32 v10, v10, v14
	v_mul_f32_e32 v15, v17, v14
	v_add_f32_e32 v10, v11, v10
	v_fma_f32 v11, v17, v14, -v15
	s_mov_b32 s1, 0x3f317218
	v_mul_f32_e32 v12, 0x3f317218, v8
	v_fmac_f32_e32 v11, v17, v10
	v_fmac_f32_e32 v11, v9, v14
	v_fma_f32 v9, v8, s1, -v12
	v_fmac_f32_e32 v9, 0xb102e308, v8
	v_add_f32_e32 v10, v12, v9
	v_sub_f32_e32 v12, v10, v12
	v_sub_f32_e32 v9, v9, v12
	v_add_f32_e32 v12, v15, v11
	v_ldexp_f32 v8, v13, 1
	v_sub_f32_e32 v13, v12, v15
	v_sub_f32_e32 v11, v11, v13
	v_add_f32_e32 v13, v8, v12
	v_ldexp_f32 v6, v6, 1
	v_sub_f32_e32 v8, v13, v8
	v_sub_f32_e32 v8, v12, v8
	v_add_f32_e32 v6, v6, v11
	v_add_f32_e32 v6, v6, v8
	;; [unrolled: 1-line block ×3, first 2 shown]
	v_sub_f32_e32 v11, v8, v13
	v_sub_f32_e32 v6, v6, v11
	v_add_f32_e32 v11, v10, v8
	v_sub_f32_e32 v12, v11, v10
	v_sub_f32_e32 v13, v11, v12
	v_sub_f32_e32 v10, v10, v13
	v_sub_f32_e32 v8, v8, v12
	v_add_f32_e32 v8, v8, v10
	v_add_f32_e32 v10, v9, v6
	v_sub_f32_e32 v12, v10, v9
	v_sub_f32_e32 v13, v10, v12
	;; [unrolled: 1-line block ×4, first 2 shown]
	v_add_f32_e32 v8, v10, v8
	v_add_f32_e32 v6, v6, v9
	;; [unrolled: 1-line block ×3, first 2 shown]
	v_sub_f32_e32 v10, v9, v11
	v_sub_f32_e32 v8, v8, v10
	v_add_f32_e32 v6, v6, v8
	v_add_f32_e32 v8, v9, v6
	v_sub_f32_e32 v9, v8, v9
	v_sub_f32_e32 v6, v6, v9
	v_mul_f32_e32 v9, v5, v8
	v_fma_f32 v8, v5, v8, -v9
	v_fmac_f32_e32 v8, v5, v6
	s_movk_i32 s11, 0x204
	v_add_f32_e32 v6, v9, v8
	v_cmp_class_f32_e64 vcc, v9, s11
	v_sub_f32_e32 v10, v6, v9
	v_cndmask_b32_e32 v6, v6, v9, vcc
	s_mov_b32 s1, 0x42b17218
	v_mov_b32_e32 v9, 0x37000000
	v_cmp_eq_f32_e32 vcc, s1, v6
	v_cndmask_b32_e32 v9, 0, v9, vcc
	v_sub_f32_e32 v8, v8, v10
	v_sub_f32_e32 v10, v6, v9
	s_mov_b32 s2, 0x3fb8aa3b
	v_mul_f32_e32 v11, 0x3fb8aa3b, v10
	v_fma_f32 v12, v10, s2, -v11
	v_rndne_f32_e32 v13, v11
	v_fmac_f32_e32 v12, 0x32a5705f, v10
	v_sub_f32_e32 v11, v11, v13
	v_add_f32_e32 v11, v11, v12
	v_exp_f32_e32 v11, v11
	v_cvt_i32_f32_e32 v12, v13
	s_mov_b32 s0, 0x7f800000
	v_cmp_neq_f32_e64 vcc, |v6|, s0
	s_mov_b32 s0, 0xc2ce8ed0
	v_cndmask_b32_e32 v6, 0, v8, vcc
	v_ldexp_f32 v8, v11, v12
	v_cmp_ngt_f32_e32 vcc, s0, v10
	v_add_f32_e32 v6, v9, v6
	v_cndmask_b32_e32 v8, 0, v8, vcc
	v_mov_b32_e32 v9, 0x7f800000
	v_cmp_nlt_f32_e32 vcc, s1, v10
	v_cndmask_b32_e32 v8, v9, v8, vcc
	v_fma_f32 v6, v8, v6, v8
	v_cmp_class_f32_e64 vcc, v8, s11
	v_cndmask_b32_e32 v6, v6, v8, vcc
	v_trunc_f32_e32 v8, v5
	v_cmp_eq_f32_e32 vcc, v8, v5
	v_mul_f32_e32 v8, 0.5, v5
	v_trunc_f32_e32 v11, v8
	v_cmp_neq_f32_e64 s[0:1], v11, v8
	s_and_b64 s[0:1], vcc, s[0:1]
	v_cndmask_b32_e64 v8, 1.0, v4, s[0:1]
	s_brev_b32 s24, -2
	v_mov_b32_e32 v10, 0x7fc00000
	v_bfi_b32 v6, s24, v6, v8
	v_cmp_neq_f32_e64 s[2:3], v5, |v5|
	v_cmp_lt_f32_e64 s[28:29], |v4|, 1.0
	v_cndmask_b32_e32 v8, v10, v6, vcc
	v_cmp_gt_f32_e32 vcc, 0, v4
	s_xor_b64 s[2:3], s[2:3], s[28:29]
	v_cndmask_b32_e32 v6, v6, v8, vcc
	v_cndmask_b32_e64 v8, v9, 0, s[2:3]
	v_cmp_neq_f32_e64 vcc, |v4|, 1.0
	v_cndmask_b32_e32 v8, 1.0, v8, vcc
	v_cmp_class_f32_e64 vcc, v5, s11
	v_cndmask_b32_e32 v6, v6, v8, vcc
	v_cmp_eq_f32_e32 vcc, 0, v4
	v_cmp_gt_f32_e64 s[2:3], 0, v5
	s_xor_b64 s[2:3], s[2:3], vcc
	s_waitcnt vmcnt(0)
	v_cvt_f32_i32_e32 v7, v7
	v_cmp_class_f32_e64 s[28:29], v4, s11
	v_cndmask_b32_e64 v5, v9, 0, s[2:3]
	v_cndmask_b32_e64 v8, 0, v4, s[0:1]
	v_bfi_b32 v5, s24, v5, v8
	s_or_b64 vcc, vcc, s[28:29]
	v_cndmask_b32_e32 v5, v6, v5, vcc
	v_cmp_o_f32_e32 vcc, v4, v4
	v_cndmask_b32_e32 v4, v10, v5, vcc
	v_mul_f32_e32 v5, v4, v7
.LBB29_25:
	s_or_b64 exec, exec, s[20:21]
                                        ; implicit-def: $vgpr4
                                        ; implicit-def: $vgpr6
.LBB29_26:
	s_andn2_saveexec_b64 s[20:21], s[22:23]
	s_cbranch_execz .LBB29_28
; %bb.27:
	v_lshl_add_u32 v4, s10, 1, v4
	v_mov_b32_e32 v5, 0
	v_lshlrev_b64 v[4:5], 2, v[4:5]
	v_mov_b32_e32 v7, s27
	v_add_co_u32_e32 v4, vcc, s26, v4
	v_addc_co_u32_e32 v5, vcc, v7, v5, vcc
	global_load_dword v7, v[4:5], off
	v_cvt_f32_i32_e32 v4, v6
	v_cmp_neq_f32_e64 vcc, s9, 1.0
	v_mov_b32_e32 v6, s9
	s_mov_b32 s0, 0x3f2aaaab
	v_mul_f32_e32 v4, 0.5, v4
	v_cndmask_b32_e32 v5, 1.0, v4, vcc
	v_cmp_neq_f32_e32 vcc, 0, v5
	v_cndmask_b32_e32 v4, 1.0, v6, vcc
	v_frexp_mant_f32_e64 v6, |v4|
	v_cmp_gt_f32_e32 vcc, s0, v6
	v_cndmask_b32_e64 v12, 1.0, 2.0, vcc
	v_mul_f32_e32 v6, v6, v12
	v_add_f32_e32 v13, 1.0, v6
	v_cvt_f64_f32_e64 v[8:9], |v4|
	v_rcp_f32_e32 v14, v13
	v_add_f32_e32 v12, -1.0, v6
	v_add_f32_e32 v15, -1.0, v13
	v_frexp_exp_i32_f64_e32 v8, v[8:9]
	v_mul_f32_e32 v9, v12, v14
	v_sub_f32_e32 v6, v6, v15
	v_mul_f32_e32 v15, v13, v9
	v_fma_f32 v13, v9, v13, -v15
	v_fmac_f32_e32 v13, v9, v6
	v_add_f32_e32 v6, v15, v13
	v_sub_f32_e32 v16, v12, v6
	v_sub_f32_e32 v15, v6, v15
	;; [unrolled: 1-line block ×5, first 2 shown]
	v_add_f32_e32 v6, v13, v6
	v_add_f32_e32 v6, v16, v6
	v_mul_f32_e32 v6, v14, v6
	v_add_f32_e32 v12, v9, v6
	v_sub_f32_e32 v9, v12, v9
	v_mul_f32_e32 v13, v12, v12
	v_sub_f32_e32 v6, v6, v9
	v_fma_f32 v9, v12, v12, -v13
	v_add_f32_e32 v14, v6, v6
	v_fmac_f32_e32 v9, v12, v14
	v_mov_b32_e32 v10, 0x3e91f4c4
	v_add_f32_e32 v14, v13, v9
	v_mov_b32_e32 v11, 0x3ecccdef
	v_fmac_f32_e32 v10, 0x3e76c4e1, v14
	v_mul_f32_e32 v15, v12, v14
	v_sub_f32_e32 v13, v14, v13
	v_fmac_f32_e32 v11, v14, v10
	v_fma_f32 v10, v14, v12, -v15
	v_sub_f32_e32 v9, v9, v13
	v_fmac_f32_e32 v10, v14, v6
	v_mul_f32_e32 v13, v14, v11
	v_fmac_f32_e32 v10, v9, v12
	v_fma_f32 v14, v14, v11, -v13
	v_add_f32_e32 v16, v15, v10
	v_fmac_f32_e32 v14, v9, v11
	v_sub_f32_e32 v9, v16, v15
	v_add_f32_e32 v11, v13, v14
	v_sub_f32_e32 v9, v10, v9
	v_add_f32_e32 v10, 0x3f2aaaaa, v11
	v_sub_f32_e32 v13, v11, v13
	v_sub_f32_e32 v13, v14, v13
	v_add_f32_e32 v14, 0xbf2aaaaa, v10
	v_add_f32_e32 v13, 0x31739010, v13
	v_sub_f32_e32 v11, v11, v14
	v_subbrev_co_u32_e32 v8, vcc, 0, v8, vcc
	v_add_f32_e32 v11, v13, v11
	v_cvt_f32_i32_e32 v8, v8
	v_add_f32_e32 v13, v10, v11
	v_sub_f32_e32 v10, v10, v13
	v_mul_f32_e32 v14, v16, v13
	v_add_f32_e32 v10, v11, v10
	v_fma_f32 v11, v16, v13, -v14
	v_fmac_f32_e32 v11, v16, v10
	s_mov_b32 s1, 0x3f317218
	v_fmac_f32_e32 v11, v9, v13
	v_mul_f32_e32 v9, 0x3f317218, v8
	v_fma_f32 v10, v8, s1, -v9
	v_fmac_f32_e32 v10, 0xb102e308, v8
	v_ldexp_f32 v8, v12, 1
	v_add_f32_e32 v12, v9, v10
	v_sub_f32_e32 v9, v12, v9
	v_sub_f32_e32 v9, v10, v9
	v_add_f32_e32 v10, v14, v11
	v_sub_f32_e32 v13, v10, v14
	v_sub_f32_e32 v11, v11, v13
	v_add_f32_e32 v13, v8, v10
	v_ldexp_f32 v6, v6, 1
	v_sub_f32_e32 v8, v13, v8
	v_sub_f32_e32 v8, v10, v8
	v_add_f32_e32 v6, v6, v11
	v_add_f32_e32 v6, v6, v8
	;; [unrolled: 1-line block ×3, first 2 shown]
	v_sub_f32_e32 v10, v8, v13
	v_sub_f32_e32 v6, v6, v10
	v_add_f32_e32 v10, v12, v8
	v_sub_f32_e32 v11, v10, v12
	v_sub_f32_e32 v13, v10, v11
	;; [unrolled: 1-line block ×4, first 2 shown]
	v_add_f32_e32 v11, v9, v6
	v_add_f32_e32 v8, v8, v12
	v_sub_f32_e32 v12, v11, v9
	v_sub_f32_e32 v13, v11, v12
	v_sub_f32_e32 v9, v9, v13
	v_sub_f32_e32 v6, v6, v12
	v_add_f32_e32 v8, v11, v8
	v_add_f32_e32 v6, v6, v9
	;; [unrolled: 1-line block ×3, first 2 shown]
	v_sub_f32_e32 v10, v9, v10
	v_sub_f32_e32 v8, v8, v10
	v_add_f32_e32 v6, v6, v8
	v_add_f32_e32 v8, v9, v6
	v_sub_f32_e32 v9, v8, v9
	v_sub_f32_e32 v6, v6, v9
	v_mul_f32_e32 v9, v5, v8
	v_fma_f32 v8, v5, v8, -v9
	v_fmac_f32_e32 v8, v5, v6
	s_movk_i32 s11, 0x204
	v_add_f32_e32 v6, v9, v8
	v_cmp_class_f32_e64 vcc, v9, s11
	v_sub_f32_e32 v10, v6, v9
	v_cndmask_b32_e32 v6, v6, v9, vcc
	s_mov_b32 s1, 0x42b17218
	v_mov_b32_e32 v9, 0x37000000
	v_cmp_eq_f32_e32 vcc, s1, v6
	v_cndmask_b32_e32 v9, 0, v9, vcc
	v_sub_f32_e32 v8, v8, v10
	v_sub_f32_e32 v10, v6, v9
	s_mov_b32 s2, 0x3fb8aa3b
	v_mul_f32_e32 v11, 0x3fb8aa3b, v10
	v_fma_f32 v12, v10, s2, -v11
	v_rndne_f32_e32 v13, v11
	v_fmac_f32_e32 v12, 0x32a5705f, v10
	v_sub_f32_e32 v11, v11, v13
	v_add_f32_e32 v11, v11, v12
	v_exp_f32_e32 v11, v11
	v_cvt_i32_f32_e32 v12, v13
	s_mov_b32 s0, 0x7f800000
	v_cmp_neq_f32_e64 vcc, |v6|, s0
	s_mov_b32 s0, 0xc2ce8ed0
	v_cndmask_b32_e32 v6, 0, v8, vcc
	v_ldexp_f32 v8, v11, v12
	v_cmp_ngt_f32_e32 vcc, s0, v10
	v_add_f32_e32 v6, v9, v6
	v_cndmask_b32_e32 v8, 0, v8, vcc
	v_mov_b32_e32 v9, 0x7f800000
	v_cmp_nlt_f32_e32 vcc, s1, v10
	v_cndmask_b32_e32 v8, v9, v8, vcc
	v_fma_f32 v6, v8, v6, v8
	v_cmp_class_f32_e64 vcc, v8, s11
	v_cndmask_b32_e32 v6, v6, v8, vcc
	v_trunc_f32_e32 v8, v5
	v_cmp_eq_f32_e32 vcc, v8, v5
	v_mul_f32_e32 v8, 0.5, v5
	v_trunc_f32_e32 v11, v8
	v_cmp_neq_f32_e64 s[0:1], v11, v8
	s_and_b64 s[0:1], vcc, s[0:1]
	v_cndmask_b32_e64 v8, 1.0, v4, s[0:1]
	s_brev_b32 s24, -2
	v_mov_b32_e32 v10, 0x7fc00000
	v_bfi_b32 v6, s24, v6, v8
	v_cmp_neq_f32_e64 s[2:3], v5, |v5|
	v_cmp_lt_f32_e64 s[22:23], |v4|, 1.0
	v_cndmask_b32_e32 v8, v10, v6, vcc
	v_cmp_gt_f32_e32 vcc, 0, v4
	s_xor_b64 s[2:3], s[2:3], s[22:23]
	v_cndmask_b32_e32 v6, v6, v8, vcc
	v_cndmask_b32_e64 v8, v9, 0, s[2:3]
	v_cmp_neq_f32_e64 vcc, |v4|, 1.0
	v_cndmask_b32_e32 v8, 1.0, v8, vcc
	v_cmp_class_f32_e64 vcc, v5, s11
	v_cndmask_b32_e32 v6, v6, v8, vcc
	v_cmp_eq_f32_e32 vcc, 0, v4
	v_cmp_gt_f32_e64 s[2:3], 0, v5
	s_xor_b64 s[2:3], s[2:3], vcc
	s_waitcnt vmcnt(0)
	v_cvt_f32_i32_e32 v7, v7
	v_cmp_class_f32_e64 s[22:23], v4, s11
	v_cndmask_b32_e64 v5, v9, 0, s[2:3]
	v_cndmask_b32_e64 v8, 0, v4, s[0:1]
	v_bfi_b32 v5, s24, v5, v8
	s_or_b64 vcc, vcc, s[22:23]
	v_cndmask_b32_e32 v5, v6, v5, vcc
	v_cmp_o_f32_e32 vcc, v4, v4
	v_cndmask_b32_e32 v4, v10, v5, vcc
	v_mul_f32_e32 v5, v4, v7
.LBB29_28:
	s_or_b64 exec, exec, s[20:21]
                                        ; implicit-def: $vgpr4
                                        ; implicit-def: $vgpr6
.LBB29_29:
	s_andn2_saveexec_b64 s[6:7], s[6:7]
	s_cbranch_execz .LBB29_31
; %bb.30:
	v_add_u32_e32 v4, s10, v4
	v_mov_b32_e32 v5, 0
	v_lshlrev_b64 v[4:5], 2, v[4:5]
	v_mov_b32_e32 v7, s27
	v_add_co_u32_e32 v4, vcc, s26, v4
	v_addc_co_u32_e32 v5, vcc, v7, v5, vcc
	global_load_dword v7, v[4:5], off
	v_cvt_f32_i32_e32 v4, v6
	v_cmp_neq_f32_e64 vcc, s9, 1.0
	v_mov_b32_e32 v6, s9
	s_mov_b32 s0, 0x3f2aaaab
	v_mul_f32_e32 v4, 0.5, v4
	v_cndmask_b32_e32 v5, 1.0, v4, vcc
	v_cmp_neq_f32_e32 vcc, 0, v5
	v_cndmask_b32_e32 v4, 1.0, v6, vcc
	v_frexp_mant_f32_e64 v6, |v4|
	v_cmp_gt_f32_e32 vcc, s0, v6
	v_cndmask_b32_e64 v12, 1.0, 2.0, vcc
	v_mul_f32_e32 v6, v6, v12
	v_add_f32_e32 v13, 1.0, v6
	v_cvt_f64_f32_e64 v[8:9], |v4|
	v_rcp_f32_e32 v14, v13
	v_add_f32_e32 v12, -1.0, v6
	v_add_f32_e32 v15, -1.0, v13
	v_frexp_exp_i32_f64_e32 v8, v[8:9]
	v_mul_f32_e32 v9, v12, v14
	v_sub_f32_e32 v6, v6, v15
	v_mul_f32_e32 v15, v13, v9
	v_fma_f32 v13, v9, v13, -v15
	v_fmac_f32_e32 v13, v9, v6
	v_add_f32_e32 v6, v15, v13
	v_sub_f32_e32 v16, v12, v6
	v_sub_f32_e32 v15, v6, v15
	;; [unrolled: 1-line block ×5, first 2 shown]
	v_add_f32_e32 v6, v13, v6
	v_add_f32_e32 v6, v16, v6
	v_mul_f32_e32 v6, v14, v6
	v_add_f32_e32 v12, v9, v6
	v_sub_f32_e32 v9, v12, v9
	v_mul_f32_e32 v13, v12, v12
	v_sub_f32_e32 v6, v6, v9
	v_fma_f32 v9, v12, v12, -v13
	v_add_f32_e32 v14, v6, v6
	v_fmac_f32_e32 v9, v12, v14
	v_mov_b32_e32 v10, 0x3e91f4c4
	v_add_f32_e32 v14, v13, v9
	v_mov_b32_e32 v11, 0x3ecccdef
	v_fmac_f32_e32 v10, 0x3e76c4e1, v14
	v_mul_f32_e32 v15, v12, v14
	v_sub_f32_e32 v13, v14, v13
	v_fmac_f32_e32 v11, v14, v10
	v_fma_f32 v10, v14, v12, -v15
	v_sub_f32_e32 v9, v9, v13
	v_fmac_f32_e32 v10, v14, v6
	v_mul_f32_e32 v13, v14, v11
	v_fmac_f32_e32 v10, v9, v12
	v_fma_f32 v14, v14, v11, -v13
	v_add_f32_e32 v16, v15, v10
	v_fmac_f32_e32 v14, v9, v11
	v_sub_f32_e32 v9, v16, v15
	v_add_f32_e32 v11, v13, v14
	v_sub_f32_e32 v9, v10, v9
	v_add_f32_e32 v10, 0x3f2aaaaa, v11
	v_sub_f32_e32 v13, v11, v13
	v_sub_f32_e32 v13, v14, v13
	v_add_f32_e32 v14, 0xbf2aaaaa, v10
	v_add_f32_e32 v13, 0x31739010, v13
	v_sub_f32_e32 v11, v11, v14
	v_subbrev_co_u32_e32 v8, vcc, 0, v8, vcc
	v_add_f32_e32 v11, v13, v11
	v_cvt_f32_i32_e32 v8, v8
	v_add_f32_e32 v13, v10, v11
	v_sub_f32_e32 v10, v10, v13
	v_mul_f32_e32 v14, v16, v13
	v_add_f32_e32 v10, v11, v10
	v_fma_f32 v11, v16, v13, -v14
	v_fmac_f32_e32 v11, v16, v10
	s_mov_b32 s1, 0x3f317218
	v_fmac_f32_e32 v11, v9, v13
	v_mul_f32_e32 v9, 0x3f317218, v8
	v_fma_f32 v10, v8, s1, -v9
	v_fmac_f32_e32 v10, 0xb102e308, v8
	v_ldexp_f32 v8, v12, 1
	v_add_f32_e32 v12, v9, v10
	v_sub_f32_e32 v9, v12, v9
	v_sub_f32_e32 v9, v10, v9
	v_add_f32_e32 v10, v14, v11
	v_sub_f32_e32 v13, v10, v14
	v_sub_f32_e32 v11, v11, v13
	v_add_f32_e32 v13, v8, v10
	v_ldexp_f32 v6, v6, 1
	v_sub_f32_e32 v8, v13, v8
	v_sub_f32_e32 v8, v10, v8
	v_add_f32_e32 v6, v6, v11
	v_add_f32_e32 v6, v6, v8
	;; [unrolled: 1-line block ×3, first 2 shown]
	v_sub_f32_e32 v10, v8, v13
	v_sub_f32_e32 v6, v6, v10
	v_add_f32_e32 v10, v12, v8
	v_sub_f32_e32 v11, v10, v12
	v_sub_f32_e32 v13, v10, v11
	v_sub_f32_e32 v12, v12, v13
	v_sub_f32_e32 v8, v8, v11
	v_add_f32_e32 v11, v9, v6
	v_add_f32_e32 v8, v8, v12
	v_sub_f32_e32 v12, v11, v9
	v_sub_f32_e32 v13, v11, v12
	;; [unrolled: 1-line block ×4, first 2 shown]
	v_add_f32_e32 v8, v11, v8
	v_add_f32_e32 v6, v6, v9
	v_add_f32_e32 v9, v10, v8
	v_sub_f32_e32 v10, v9, v10
	v_sub_f32_e32 v8, v8, v10
	v_add_f32_e32 v6, v6, v8
	v_add_f32_e32 v8, v9, v6
	v_sub_f32_e32 v9, v8, v9
	v_sub_f32_e32 v6, v6, v9
	v_mul_f32_e32 v9, v5, v8
	v_fma_f32 v8, v5, v8, -v9
	v_fmac_f32_e32 v8, v5, v6
	s_movk_i32 s9, 0x204
	v_add_f32_e32 v6, v9, v8
	v_cmp_class_f32_e64 vcc, v9, s9
	v_sub_f32_e32 v10, v6, v9
	v_cndmask_b32_e32 v6, v6, v9, vcc
	s_mov_b32 s1, 0x42b17218
	v_mov_b32_e32 v9, 0x37000000
	v_cmp_eq_f32_e32 vcc, s1, v6
	v_cndmask_b32_e32 v9, 0, v9, vcc
	v_sub_f32_e32 v8, v8, v10
	v_sub_f32_e32 v10, v6, v9
	s_mov_b32 s2, 0x3fb8aa3b
	v_mul_f32_e32 v11, 0x3fb8aa3b, v10
	v_fma_f32 v12, v10, s2, -v11
	v_rndne_f32_e32 v13, v11
	v_fmac_f32_e32 v12, 0x32a5705f, v10
	v_sub_f32_e32 v11, v11, v13
	v_add_f32_e32 v11, v11, v12
	v_exp_f32_e32 v11, v11
	v_cvt_i32_f32_e32 v12, v13
	s_mov_b32 s0, 0x7f800000
	v_cmp_neq_f32_e64 vcc, |v6|, s0
	s_mov_b32 s0, 0xc2ce8ed0
	v_cndmask_b32_e32 v6, 0, v8, vcc
	v_ldexp_f32 v8, v11, v12
	v_cmp_ngt_f32_e32 vcc, s0, v10
	v_add_f32_e32 v6, v9, v6
	v_cndmask_b32_e32 v8, 0, v8, vcc
	v_mov_b32_e32 v9, 0x7f800000
	v_cmp_nlt_f32_e32 vcc, s1, v10
	v_cndmask_b32_e32 v8, v9, v8, vcc
	v_fma_f32 v6, v8, v6, v8
	v_cmp_class_f32_e64 vcc, v8, s9
	v_cndmask_b32_e32 v6, v6, v8, vcc
	v_trunc_f32_e32 v8, v5
	v_cmp_eq_f32_e32 vcc, v8, v5
	v_mul_f32_e32 v8, 0.5, v5
	v_trunc_f32_e32 v11, v8
	v_cmp_neq_f32_e64 s[0:1], v11, v8
	s_and_b64 s[0:1], vcc, s[0:1]
	v_cndmask_b32_e64 v8, 1.0, v4, s[0:1]
	s_brev_b32 s20, -2
	v_mov_b32_e32 v10, 0x7fc00000
	v_bfi_b32 v6, s20, v6, v8
	v_cmp_neq_f32_e64 s[2:3], v5, |v5|
	v_cmp_lt_f32_e64 s[10:11], |v4|, 1.0
	v_cndmask_b32_e32 v8, v10, v6, vcc
	v_cmp_gt_f32_e32 vcc, 0, v4
	s_xor_b64 s[2:3], s[2:3], s[10:11]
	v_cndmask_b32_e32 v6, v6, v8, vcc
	v_cndmask_b32_e64 v8, v9, 0, s[2:3]
	v_cmp_neq_f32_e64 vcc, |v4|, 1.0
	v_cndmask_b32_e32 v8, 1.0, v8, vcc
	v_cmp_class_f32_e64 vcc, v5, s9
	v_cndmask_b32_e32 v6, v6, v8, vcc
	v_cmp_eq_f32_e32 vcc, 0, v4
	v_cmp_gt_f32_e64 s[2:3], 0, v5
	s_xor_b64 s[2:3], s[2:3], vcc
	s_waitcnt vmcnt(0)
	v_cvt_f32_i32_e32 v7, v7
	v_cmp_class_f32_e64 s[10:11], v4, s9
	v_cndmask_b32_e64 v5, v9, 0, s[2:3]
	v_cndmask_b32_e64 v8, 0, v4, s[0:1]
	v_bfi_b32 v5, s20, v5, v8
	s_or_b64 vcc, vcc, s[10:11]
	v_cndmask_b32_e32 v5, v6, v5, vcc
	v_cmp_o_f32_e32 vcc, v4, v4
	v_cndmask_b32_e32 v4, v10, v5, vcc
	v_mul_f32_e32 v5, v4, v7
.LBB29_31:
	s_or_b64 exec, exec, s[6:7]
.LBB29_32:
	s_load_dwordx2 s[0:1], s[4:5], 0x58
	v_lshlrev_b64 v[3:4], 2, v[2:3]
	s_waitcnt lgkmcnt(0)
	v_mov_b32_e32 v6, s1
	v_add_co_u32_e32 v3, vcc, s0, v3
	v_addc_co_u32_e32 v4, vcc, v6, v4, vcc
	global_load_dword v3, v[3:4], off
	s_waitcnt vmcnt(0)
	v_div_scale_f32 v4, s[0:1], v3, v3, v5
	v_div_scale_f32 v6, vcc, v5, v3, v5
	v_cmp_eq_f32_e64 s[0:1], s13, 0
	v_rcp_f32_e32 v7, v4
	v_fma_f32 v8, -v4, v7, 1.0
	v_fmac_f32_e32 v7, v8, v7
	v_mul_f32_e32 v8, v6, v7
	v_fma_f32 v9, -v4, v8, v6
	v_fmac_f32_e32 v8, v9, v7
	v_fma_f32 v4, -v4, v8, v6
	v_div_fmas_f32 v6, v4, v7, v8
	s_and_b64 vcc, exec, s[0:1]
	v_div_fixup_f32 v5, v6, v3, v5
	v_mul_f32_e32 v3, s12, v5
	s_cbranch_vccnz .LBB29_34
; %bb.33:
	v_cvt_f32_i32_e32 v2, v2
	v_div_scale_f32 v6, s[0:1], s12, s12, 1.0
	v_mov_b32_e32 v4, s15
	v_sub_f32_e32 v4, s8, v4
	v_subrev_f32_e32 v2, s15, v2
	v_max_f32_e32 v4, 0x3a83126f, v4
	v_div_scale_f32 v7, s[0:1], v4, v4, v2
	v_div_scale_f32 v8, s[0:1], 1.0, s12, 1.0
	v_div_scale_f32 v9, vcc, v2, v4, v2
	s_mov_b32 s2, 0x3f317217
	s_mov_b32 s3, 0x7f800000
	v_rcp_f32_e32 v10, v6
	v_fma_f32 v11, -v6, v10, 1.0
	v_fmac_f32_e32 v10, v11, v10
	v_rcp_f32_e32 v12, v7
	v_mul_f32_e32 v11, v8, v10
	v_fma_f32 v13, -v6, v11, v8
	v_fmac_f32_e32 v11, v13, v10
	v_fma_f32 v13, -v7, v12, 1.0
	v_fmac_f32_e32 v12, v13, v12
	v_fma_f32 v6, -v6, v11, v8
	v_mul_f32_e32 v8, v9, v12
	v_fma_f32 v13, -v7, v8, v9
	v_fmac_f32_e32 v8, v13, v12
	v_fma_f32 v7, -v7, v8, v9
	v_div_fmas_f32 v7, v7, v12, v8
	s_mov_b64 vcc, s[0:1]
	v_div_fmas_f32 v6, v6, v10, v11
	s_mov_b32 s0, 0x800000
	v_mov_b32_e32 v8, 0x41b17218
	v_div_fixup_f32 v2, v7, v4, v2 clamp
	v_sub_f32_e32 v2, 1.0, v2
	v_div_fixup_f32 v4, v6, s12, 1.0
	v_cmp_gt_f32_e32 vcc, s0, v4
	s_and_b64 s[0:1], vcc, exec
	s_cselect_b32 s0, 32, 0
	v_ldexp_f32 v4, v4, s0
	v_log_f32_e32 v4, v4
	v_mul_f32_e32 v6, s13, v2
	v_fma_f32 v2, -s13, v2, 1.0
	v_mul_f32_e32 v3, v2, v3
	v_mul_f32_e32 v2, 0x3f317217, v4
	v_fma_f32 v2, v4, s2, -v2
	v_fmac_f32_e32 v2, 0x3377d1cf, v4
	v_cndmask_b32_e32 v7, 0, v8, vcc
	v_fmac_f32_e32 v2, 0x3f317217, v4
	v_cmp_lt_f32_e64 vcc, |v4|, s3
	v_cndmask_b32_e32 v2, v4, v2, vcc
	v_sub_f32_e32 v2, v2, v7
	s_mov_b32 s0, 0x3dcccccd
	v_fma_f32 v2, v2, s0, 1.0
	v_fmac_f32_e32 v3, v6, v5
	v_mul_f32_e32 v4, s14, v2
	s_branch .LBB29_35
.LBB29_34:
	v_mov_b32_e32 v4, s14
.LBB29_35:
	v_and_b32_e32 v5, 0x7fffffff, v3
	s_brev_b32 s0, 18
	v_cmp_nlt_f32_e64 s[6:7], |v3|, s0
	v_lshrrev_b32_e32 v2, 23, v5
                                        ; implicit-def: $vgpr7
                                        ; implicit-def: $vgpr6
	s_and_saveexec_b64 s[0:1], s[6:7]
	s_xor_b64 s[8:9], exec, s[0:1]
	s_cbranch_execz .LBB29_37
; %bb.36:
	v_and_b32_e32 v6, 0x7fffff, v5
	v_or_b32_e32 v15, 0x800000, v6
	s_mov_b32 s0, 0xfe5163ab
	v_mad_u64_u32 v[6:7], s[0:1], v15, s0, 0
	v_mov_b32_e32 v8, 0
	s_mov_b32 s0, 0x3c439041
	v_mad_u64_u32 v[9:10], s[0:1], v15, s0, v[7:8]
	s_mov_b32 s0, 0xdb629599
	v_add_u32_e32 v14, 0xffffff88, v2
	v_mov_b32_e32 v7, v10
	v_mad_u64_u32 v[10:11], s[0:1], v15, s0, v[7:8]
	s_mov_b32 s0, 0xf534ddc0
	v_not_b32_e32 v16, 63
	v_mov_b32_e32 v7, v11
	v_mad_u64_u32 v[11:12], s[0:1], v15, s0, v[7:8]
	s_mov_b32 s0, 0xfc2757d1
	v_cmp_lt_u32_e32 vcc, 63, v14
	v_mov_b32_e32 v7, v12
	v_mad_u64_u32 v[12:13], s[0:1], v15, s0, v[7:8]
	v_cndmask_b32_e32 v7, 0, v16, vcc
	v_add_u32_e32 v16, v7, v14
	v_mov_b32_e32 v7, v13
	s_mov_b32 s0, 0x4e441529
	v_mad_u64_u32 v[13:14], s[0:1], v15, s0, v[7:8]
	v_not_b32_e32 v17, 31
	v_cmp_lt_u32_e64 s[0:1], 31, v16
	v_cndmask_b32_e64 v7, 0, v17, s[0:1]
	v_add_u32_e32 v16, v7, v16
	v_mov_b32_e32 v7, v14
	s_mov_b32 s2, 0xa2f9836e
	v_mad_u64_u32 v[7:8], s[2:3], v15, s2, v[7:8]
	v_cmp_lt_u32_e64 s[2:3], 31, v16
	v_cndmask_b32_e64 v14, 0, v17, s[2:3]
	v_cndmask_b32_e32 v15, v13, v11, vcc
	v_cndmask_b32_e32 v7, v7, v12, vcc
	;; [unrolled: 1-line block ×3, first 2 shown]
	v_add_u32_e32 v14, v14, v16
	v_cndmask_b32_e64 v16, v7, v15, s[0:1]
	v_cndmask_b32_e64 v7, v8, v7, s[0:1]
	v_cndmask_b32_e32 v8, v12, v10, vcc
	v_cndmask_b32_e64 v12, v15, v8, s[0:1]
	v_cndmask_b32_e32 v9, v11, v9, vcc
	v_cndmask_b32_e64 v7, v7, v16, s[2:3]
	v_cndmask_b32_e64 v13, v16, v12, s[2:3]
	v_sub_u32_e32 v15, 32, v14
	v_cndmask_b32_e64 v8, v8, v9, s[0:1]
	v_alignbit_b32 v16, v7, v13, v15
	v_cmp_eq_u32_e64 s[4:5], 0, v14
	v_cndmask_b32_e64 v11, v12, v8, s[2:3]
	v_cndmask_b32_e64 v7, v16, v7, s[4:5]
	v_alignbit_b32 v12, v13, v11, v15
	v_cndmask_b32_e32 v6, v10, v6, vcc
	v_cndmask_b32_e64 v12, v12, v13, s[4:5]
	v_bfe_u32 v16, v7, 29, 1
	v_cndmask_b32_e64 v6, v9, v6, s[0:1]
	v_alignbit_b32 v13, v7, v12, 30
	v_sub_u32_e32 v17, 0, v16
	v_cndmask_b32_e64 v6, v8, v6, s[2:3]
	v_xor_b32_e32 v13, v13, v17
	v_alignbit_b32 v8, v11, v6, v15
	v_cndmask_b32_e64 v8, v8, v11, s[4:5]
	v_ffbh_u32_e32 v10, v13
	v_alignbit_b32 v9, v12, v8, 30
	v_min_u32_e32 v10, 32, v10
	v_alignbit_b32 v6, v8, v6, 30
	v_xor_b32_e32 v9, v9, v17
	v_sub_u32_e32 v11, 31, v10
	v_xor_b32_e32 v6, v6, v17
	v_alignbit_b32 v12, v13, v9, v11
	v_alignbit_b32 v6, v9, v6, v11
	;; [unrolled: 1-line block ×3, first 2 shown]
	v_ffbh_u32_e32 v9, v8
	v_min_u32_e32 v9, 32, v9
	v_lshrrev_b32_e32 v14, 29, v7
	v_not_b32_e32 v11, v9
	v_alignbit_b32 v6, v8, v6, v11
	v_lshlrev_b32_e32 v8, 31, v14
	v_or_b32_e32 v11, 0x33000000, v8
	v_add_lshl_u32 v9, v9, v10, 23
	v_lshrrev_b32_e32 v6, 9, v6
	v_sub_u32_e32 v9, v11, v9
	v_or_b32_e32 v8, 0.5, v8
	v_lshlrev_b32_e32 v10, 23, v10
	v_or_b32_e32 v6, v9, v6
	v_lshrrev_b32_e32 v9, 9, v12
	v_sub_u32_e32 v8, v8, v10
	v_or_b32_e32 v8, v9, v8
	s_mov_b32 s0, 0x3fc90fda
	v_mul_f32_e32 v9, 0x3fc90fda, v8
	v_fma_f32 v10, v8, s0, -v9
	v_fmac_f32_e32 v10, 0x33a22168, v8
	v_fmac_f32_e32 v10, 0x3fc90fda, v6
	v_lshrrev_b32_e32 v7, 30, v7
	v_add_f32_e32 v6, v9, v10
	v_add_u32_e32 v7, v16, v7
	s_andn2_saveexec_b64 s[0:1], s[8:9]
	s_cbranch_execz .LBB29_39
	s_branch .LBB29_38
.LBB29_37:
	s_andn2_saveexec_b64 s[0:1], s[8:9]
	s_cbranch_execz .LBB29_39
.LBB29_38:
	s_mov_b32 s2, 0x3f22f983
	v_mul_f32_e64 v6, |v3|, s2
	v_rndne_f32_e32 v8, v6
	s_mov_b32 s2, 0xbfc90fda
	v_cvt_i32_f32_e32 v7, v8
	v_fma_f32 v6, v8, s2, |v3|
	v_fmac_f32_e32 v6, 0xb3a22168, v8
	v_fmac_f32_e32 v6, 0xa7c234c4, v8
.LBB29_39:
	s_or_b64 exec, exec, s[0:1]
                                        ; implicit-def: $vgpr9
                                        ; implicit-def: $vgpr8
	s_and_saveexec_b64 s[0:1], s[6:7]
	s_xor_b64 s[6:7], exec, s[0:1]
	s_cbranch_execz .LBB29_41
; %bb.40:
	v_and_b32_e32 v8, 0x7fffff, v5
	v_or_b32_e32 v17, 0x800000, v8
	s_mov_b32 s0, 0xfe5163ab
	v_mad_u64_u32 v[8:9], s[0:1], v17, s0, 0
	v_mov_b32_e32 v10, 0
	s_mov_b32 s0, 0x3c439041
	v_mad_u64_u32 v[11:12], s[0:1], v17, s0, v[9:10]
	s_mov_b32 s0, 0xdb629599
	v_add_u32_e32 v2, 0xffffff88, v2
	v_mov_b32_e32 v9, v12
	v_mad_u64_u32 v[12:13], s[0:1], v17, s0, v[9:10]
	s_mov_b32 s0, 0xf534ddc0
	v_not_b32_e32 v16, 63
	v_mov_b32_e32 v9, v13
	v_mad_u64_u32 v[13:14], s[0:1], v17, s0, v[9:10]
	s_mov_b32 s0, 0xfc2757d1
	v_cmp_lt_u32_e32 vcc, 63, v2
	v_mov_b32_e32 v9, v14
	v_mad_u64_u32 v[14:15], s[0:1], v17, s0, v[9:10]
	v_cndmask_b32_e32 v9, 0, v16, vcc
	v_add_u32_e32 v2, v9, v2
	v_mov_b32_e32 v9, v15
	s_mov_b32 s0, 0x4e441529
	v_mad_u64_u32 v[15:16], s[0:1], v17, s0, v[9:10]
	v_not_b32_e32 v18, 31
	v_cmp_lt_u32_e64 s[0:1], 31, v2
	v_cndmask_b32_e64 v9, 0, v18, s[0:1]
	v_add_u32_e32 v2, v9, v2
	v_mov_b32_e32 v9, v16
	s_mov_b32 s2, 0xa2f9836e
	v_mad_u64_u32 v[9:10], s[2:3], v17, s2, v[9:10]
	v_cmp_lt_u32_e64 s[2:3], 31, v2
	v_cndmask_b32_e64 v16, 0, v18, s[2:3]
	v_add_u32_e32 v2, v16, v2
	v_cndmask_b32_e32 v16, v15, v13, vcc
	v_cndmask_b32_e32 v9, v9, v14, vcc
	v_cndmask_b32_e32 v10, v10, v15, vcc
	v_cndmask_b32_e64 v17, v9, v16, s[0:1]
	v_cndmask_b32_e64 v9, v10, v9, s[0:1]
	v_cndmask_b32_e32 v10, v14, v12, vcc
	v_cndmask_b32_e64 v14, v16, v10, s[0:1]
	v_cndmask_b32_e64 v9, v9, v17, s[2:3]
	;; [unrolled: 1-line block ×3, first 2 shown]
	v_sub_u32_e32 v16, 32, v2
	v_alignbit_b32 v17, v9, v15, v16
	v_cmp_eq_u32_e64 s[4:5], 0, v2
	v_cndmask_b32_e64 v2, v17, v9, s[4:5]
	v_cndmask_b32_e32 v9, v13, v11, vcc
	v_cndmask_b32_e64 v10, v10, v9, s[0:1]
	v_cndmask_b32_e64 v11, v14, v10, s[2:3]
	v_alignbit_b32 v13, v15, v11, v16
	v_cndmask_b32_e32 v8, v12, v8, vcc
	v_cndmask_b32_e64 v13, v13, v15, s[4:5]
	v_bfe_u32 v17, v2, 29, 1
	v_cndmask_b32_e64 v8, v9, v8, s[0:1]
	v_alignbit_b32 v14, v2, v13, 30
	v_sub_u32_e32 v18, 0, v17
	v_cndmask_b32_e64 v8, v10, v8, s[2:3]
	v_xor_b32_e32 v14, v14, v18
	v_alignbit_b32 v9, v11, v8, v16
	v_cndmask_b32_e64 v9, v9, v11, s[4:5]
	v_ffbh_u32_e32 v11, v14
	v_alignbit_b32 v10, v13, v9, 30
	v_min_u32_e32 v11, 32, v11
	v_alignbit_b32 v8, v9, v8, 30
	v_xor_b32_e32 v10, v10, v18
	v_sub_u32_e32 v12, 31, v11
	v_xor_b32_e32 v8, v8, v18
	v_alignbit_b32 v13, v14, v10, v12
	v_alignbit_b32 v8, v10, v8, v12
	;; [unrolled: 1-line block ×3, first 2 shown]
	v_ffbh_u32_e32 v10, v9
	v_min_u32_e32 v10, 32, v10
	v_lshrrev_b32_e32 v15, 29, v2
	v_not_b32_e32 v12, v10
	v_alignbit_b32 v8, v9, v8, v12
	v_lshlrev_b32_e32 v9, 31, v15
	v_or_b32_e32 v12, 0x33000000, v9
	v_add_lshl_u32 v10, v10, v11, 23
	v_lshrrev_b32_e32 v8, 9, v8
	v_sub_u32_e32 v10, v12, v10
	v_or_b32_e32 v9, 0.5, v9
	v_lshlrev_b32_e32 v11, 23, v11
	v_or_b32_e32 v8, v10, v8
	v_lshrrev_b32_e32 v10, 9, v13
	v_sub_u32_e32 v9, v9, v11
	v_or_b32_e32 v9, v10, v9
	s_mov_b32 s0, 0x3fc90fda
	v_mul_f32_e32 v10, 0x3fc90fda, v9
	v_fma_f32 v11, v9, s0, -v10
	v_fmac_f32_e32 v11, 0x33a22168, v9
	v_fmac_f32_e32 v11, 0x3fc90fda, v8
	v_lshrrev_b32_e32 v2, 30, v2
	v_add_f32_e32 v8, v10, v11
	v_add_u32_e32 v9, v17, v2
	s_andn2_saveexec_b64 s[0:1], s[6:7]
	s_cbranch_execnz .LBB29_42
	s_branch .LBB29_43
.LBB29_41:
	s_andn2_saveexec_b64 s[0:1], s[6:7]
	s_cbranch_execz .LBB29_43
.LBB29_42:
	s_mov_b32 s2, 0x3f22f983
	v_mul_f32_e64 v2, |v3|, s2
	v_rndne_f32_e32 v2, v2
	s_mov_b32 s2, 0xbfc90fda
	v_cvt_i32_f32_e32 v9, v2
	v_fma_f32 v8, v2, s2, |v3|
	v_fmac_f32_e32 v8, 0xb3a22168, v2
	v_fmac_f32_e32 v8, 0xa7c234c4, v2
.LBB29_43:
	s_or_b64 exec, exec, s[0:1]
	v_ashrrev_i32_e32 v2, 31, v1
	s_lshr_b32 s0, s25, 31
	v_lshlrev_b64 v[1:2], 1, v[1:2]
	s_add_i32 s0, s25, s0
	s_ashr_i32 s0, s0, 1
	v_mov_b32_e32 v10, s17
	v_add_co_u32_e32 v1, vcc, s16, v1
	s_ashr_i32 s1, s0, 31
	v_addc_co_u32_e32 v2, vcc, v10, v2, vcc
	s_lshl_b64 s[0:1], s[0:1], 1
	global_load_ushort v10, v[1:2], off
	v_mov_b32_e32 v11, s1
	v_add_co_u32_e32 v1, vcc, s0, v1
	v_addc_co_u32_e32 v2, vcc, v2, v11, vcc
	global_load_ushort v2, v[1:2], off
	v_ashrrev_i32_e32 v1, 31, v0
	v_lshlrev_b64 v[0:1], 1, v[0:1]
	v_mov_b32_e32 v17, s19
	v_add_co_u32_e32 v0, vcc, s18, v0
	v_mul_f32_e32 v12, v6, v6
	v_mov_b32_e32 v16, 0xbab64f3b
	v_addc_co_u32_e32 v1, vcc, v17, v1, vcc
	v_mov_b32_e32 v17, 0xbab64f3b
	v_mul_f32_e32 v19, v8, v8
	v_mov_b32_e32 v13, 0x3c0881c4
	v_mov_b32_e32 v14, 0x3c0881c4
	;; [unrolled: 1-line block ×3, first 2 shown]
	v_fmac_f32_e32 v17, 0x37d75334, v12
	v_fmac_f32_e32 v16, 0x37d75334, v19
	v_mov_b32_e32 v15, 0xbe2aaa9d
	v_fmac_f32_e32 v14, 0xb94c1982, v12
	v_fmac_f32_e32 v13, 0xb94c1982, v19
	v_fma_f32 v17, v12, v17, v18
	v_fmac_f32_e32 v18, v19, v16
	v_lshlrev_b32_e32 v16, 30, v9
	v_fma_f32 v14, v12, v14, v15
	v_fmac_f32_e32 v15, v19, v13
	v_mov_b32_e32 v13, 0xbf000004
	v_xor_b32_e32 v5, v5, v3
	v_and_b32_e32 v16, 0x80000000, v16
	v_xor_b32_e32 v5, v5, v16
	v_and_b32_e32 v16, 1, v7
	v_fma_f32 v17, v12, v17, v13
	v_mul_f32_e32 v14, v12, v14
	v_fmac_f32_e32 v13, v19, v18
	v_and_b32_e32 v9, 1, v9
	v_mul_f32_e32 v15, v19, v15
	v_fmac_f32_e32 v6, v6, v14
	v_fma_f32 v12, v12, v17, 1.0
	v_cmp_eq_u32_e32 vcc, 0, v16
	v_fmac_f32_e32 v8, v8, v15
	v_fma_f32 v13, v19, v13, 1.0
	v_cndmask_b32_e64 v6, -v6, v12, vcc
	v_cmp_eq_u32_e32 vcc, 0, v9
	v_lshlrev_b32_e32 v7, 30, v7
	v_cndmask_b32_e32 v8, v13, v8, vcc
	v_and_b32_e32 v7, 0x80000000, v7
	v_xor_b32_e32 v8, v5, v8
	v_add_co_u32_e32 v5, vcc, s0, v0
	s_movk_i32 s1, 0x1f8
	v_xor_b32_e32 v7, v7, v6
	v_addc_co_u32_e32 v6, vcc, v1, v11, vcc
	v_mov_b32_e32 v18, 0x7fc00000
	v_cmp_class_f32_e64 vcc, v3, s1
	v_cndmask_b32_e32 v3, v18, v7, vcc
	v_cndmask_b32_e32 v7, v18, v8, vcc
	v_mul_f32_e32 v3, v4, v3
	v_mul_f32_e64 v4, v7, -v4
	s_waitcnt vmcnt(1)
	v_cvt_f32_f16_e32 v8, v10
	v_mul_f32_e32 v7, v4, v8
	s_waitcnt vmcnt(0)
	v_cvt_f32_f16_e32 v9, v2
	v_fma_mixlo_f16 v2, v3, v2, v7 op_sel_hi:[0,1,0]
	v_mul_f32_e32 v4, v4, v9
	v_fma_mixlo_f16 v3, v3, v10, -v4 op_sel_hi:[0,1,0]
	global_store_short v[0:1], v3, off
	global_store_short v[5:6], v2, off
.LBB29_44:
	s_endpgm
	.section	.rodata,"a",@progbits
	.p2align	6, 0x0
	.amdhsa_kernel _ZL10rope_multiILb0ELb1E6__halfEvPKT1_PS1_iiiiiiiiiiPKifff14rope_corr_dimsfPKf14mrope_sectionsb
		.amdhsa_group_segment_fixed_size 0
		.amdhsa_private_segment_fixed_size 0
		.amdhsa_kernarg_size 376
		.amdhsa_user_sgpr_count 6
		.amdhsa_user_sgpr_private_segment_buffer 1
		.amdhsa_user_sgpr_dispatch_ptr 0
		.amdhsa_user_sgpr_queue_ptr 0
		.amdhsa_user_sgpr_kernarg_segment_ptr 1
		.amdhsa_user_sgpr_dispatch_id 0
		.amdhsa_user_sgpr_flat_scratch_init 0
		.amdhsa_user_sgpr_private_segment_size 0
		.amdhsa_uses_dynamic_stack 0
		.amdhsa_system_sgpr_private_segment_wavefront_offset 0
		.amdhsa_system_sgpr_workgroup_id_x 1
		.amdhsa_system_sgpr_workgroup_id_y 1
		.amdhsa_system_sgpr_workgroup_id_z 0
		.amdhsa_system_sgpr_workgroup_info 0
		.amdhsa_system_vgpr_workitem_id 1
		.amdhsa_next_free_vgpr 21
		.amdhsa_next_free_sgpr 36
		.amdhsa_reserve_vcc 1
		.amdhsa_reserve_flat_scratch 0
		.amdhsa_float_round_mode_32 0
		.amdhsa_float_round_mode_16_64 0
		.amdhsa_float_denorm_mode_32 3
		.amdhsa_float_denorm_mode_16_64 3
		.amdhsa_dx10_clamp 1
		.amdhsa_ieee_mode 1
		.amdhsa_fp16_overflow 0
		.amdhsa_exception_fp_ieee_invalid_op 0
		.amdhsa_exception_fp_denorm_src 0
		.amdhsa_exception_fp_ieee_div_zero 0
		.amdhsa_exception_fp_ieee_overflow 0
		.amdhsa_exception_fp_ieee_underflow 0
		.amdhsa_exception_fp_ieee_inexact 0
		.amdhsa_exception_int_div_zero 0
	.end_amdhsa_kernel
	.section	.text._ZL10rope_multiILb0ELb1E6__halfEvPKT1_PS1_iiiiiiiiiiPKifff14rope_corr_dimsfPKf14mrope_sectionsb,"axG",@progbits,_ZL10rope_multiILb0ELb1E6__halfEvPKT1_PS1_iiiiiiiiiiPKifff14rope_corr_dimsfPKf14mrope_sectionsb,comdat
.Lfunc_end29:
	.size	_ZL10rope_multiILb0ELb1E6__halfEvPKT1_PS1_iiiiiiiiiiPKifff14rope_corr_dimsfPKf14mrope_sectionsb, .Lfunc_end29-_ZL10rope_multiILb0ELb1E6__halfEvPKT1_PS1_iiiiiiiiiiPKifff14rope_corr_dimsfPKf14mrope_sectionsb
                                        ; -- End function
	.set _ZL10rope_multiILb0ELb1E6__halfEvPKT1_PS1_iiiiiiiiiiPKifff14rope_corr_dimsfPKf14mrope_sectionsb.num_vgpr, 21
	.set _ZL10rope_multiILb0ELb1E6__halfEvPKT1_PS1_iiiiiiiiiiPKifff14rope_corr_dimsfPKf14mrope_sectionsb.num_agpr, 0
	.set _ZL10rope_multiILb0ELb1E6__halfEvPKT1_PS1_iiiiiiiiiiPKifff14rope_corr_dimsfPKf14mrope_sectionsb.numbered_sgpr, 36
	.set _ZL10rope_multiILb0ELb1E6__halfEvPKT1_PS1_iiiiiiiiiiPKifff14rope_corr_dimsfPKf14mrope_sectionsb.num_named_barrier, 0
	.set _ZL10rope_multiILb0ELb1E6__halfEvPKT1_PS1_iiiiiiiiiiPKifff14rope_corr_dimsfPKf14mrope_sectionsb.private_seg_size, 0
	.set _ZL10rope_multiILb0ELb1E6__halfEvPKT1_PS1_iiiiiiiiiiPKifff14rope_corr_dimsfPKf14mrope_sectionsb.uses_vcc, 1
	.set _ZL10rope_multiILb0ELb1E6__halfEvPKT1_PS1_iiiiiiiiiiPKifff14rope_corr_dimsfPKf14mrope_sectionsb.uses_flat_scratch, 0
	.set _ZL10rope_multiILb0ELb1E6__halfEvPKT1_PS1_iiiiiiiiiiPKifff14rope_corr_dimsfPKf14mrope_sectionsb.has_dyn_sized_stack, 0
	.set _ZL10rope_multiILb0ELb1E6__halfEvPKT1_PS1_iiiiiiiiiiPKifff14rope_corr_dimsfPKf14mrope_sectionsb.has_recursion, 0
	.set _ZL10rope_multiILb0ELb1E6__halfEvPKT1_PS1_iiiiiiiiiiPKifff14rope_corr_dimsfPKf14mrope_sectionsb.has_indirect_call, 0
	.section	.AMDGPU.csdata,"",@progbits
; Kernel info:
; codeLenInByte = 10284
; TotalNumSgprs: 40
; NumVgprs: 21
; ScratchSize: 0
; MemoryBound: 0
; FloatMode: 240
; IeeeMode: 1
; LDSByteSize: 0 bytes/workgroup (compile time only)
; SGPRBlocks: 4
; VGPRBlocks: 5
; NumSGPRsForWavesPerEU: 40
; NumVGPRsForWavesPerEU: 21
; Occupancy: 10
; WaveLimiterHint : 0
; COMPUTE_PGM_RSRC2:SCRATCH_EN: 0
; COMPUTE_PGM_RSRC2:USER_SGPR: 6
; COMPUTE_PGM_RSRC2:TRAP_HANDLER: 0
; COMPUTE_PGM_RSRC2:TGID_X_EN: 1
; COMPUTE_PGM_RSRC2:TGID_Y_EN: 1
; COMPUTE_PGM_RSRC2:TGID_Z_EN: 0
; COMPUTE_PGM_RSRC2:TIDIG_COMP_CNT: 1
	.section	.text._ZL11rope_visionILb0ELb0EfEvPKT1_PS0_iiiiiiiiiiPKifff14rope_corr_dimsfPKf14mrope_sections,"axG",@progbits,_ZL11rope_visionILb0ELb0EfEvPKT1_PS0_iiiiiiiiiiPKifff14rope_corr_dimsfPKf14mrope_sections,comdat
	.globl	_ZL11rope_visionILb0ELb0EfEvPKT1_PS0_iiiiiiiiiiPKifff14rope_corr_dimsfPKf14mrope_sections ; -- Begin function _ZL11rope_visionILb0ELb0EfEvPKT1_PS0_iiiiiiiiiiPKifff14rope_corr_dimsfPKf14mrope_sections
	.p2align	8
	.type	_ZL11rope_visionILb0ELb0EfEvPKT1_PS0_iiiiiiiiiiPKifff14rope_corr_dimsfPKf14mrope_sections,@function
_ZL11rope_visionILb0ELb0EfEvPKT1_PS0_iiiiiiiiiiPKifff14rope_corr_dimsfPKf14mrope_sections: ; @_ZL11rope_visionILb0ELb0EfEvPKT1_PS0_iiiiiiiiiiPKifff14rope_corr_dimsfPKf14mrope_sections
; %bb.0:
	s_load_dword s0, s[4:5], 0x7c
	s_load_dwordx8 s[8:15], s[4:5], 0x10
	s_add_u32 s2, s4, 0x70
	s_addc_u32 s3, s5, 0
	s_waitcnt lgkmcnt(0)
	s_lshr_b32 s0, s0, 16
	s_mul_i32 s7, s7, s0
	v_add_lshl_u32 v1, s7, v1, 1
	v_cmp_gt_i32_e32 vcc, s8, v1
	s_and_saveexec_b64 s[0:1], vcc
	s_cbranch_execz .LBB30_20
; %bb.1:
	s_mul_i32 s7, s10, s9
	s_abs_i32 s8, s7
	v_cvt_f32_u32_e32 v2, s8
	s_load_dwordx2 s[0:1], s[4:5], 0x60
	s_load_dword s16, s[2:3], 0xc
	s_sub_i32 s3, 0, s8
	v_cvt_f32_u32_e32 v3, s9
	v_rcp_iflag_f32_e32 v2, v2
	s_sub_i32 s2, 0, s9
	s_waitcnt lgkmcnt(0)
	s_add_i32 s1, s1, s0
	v_rcp_iflag_f32_e32 v3, v3
	v_mul_f32_e32 v2, 0x4f7ffffe, v2
	v_cvt_u32_f32_e32 v2, v2
	s_mov_b64 s[24:25], -1
	v_mul_f32_e32 v3, 0x4f7ffffe, v3
	v_mul_lo_u32 v4, s3, v2
	s_and_b32 s3, s16, 0xffff
	s_mul_i32 s6, s6, s3
	v_add_u32_e32 v0, s6, v0
	v_mul_hi_u32 v4, v2, v4
	v_sub_u32_e32 v5, 0, v0
	v_max_i32_e32 v5, v0, v5
	s_load_dwordx2 s[20:21], s[4:5], 0x30
	s_load_dwordx4 s[16:19], s[4:5], 0x40
	v_add_u32_e32 v2, v2, v4
	v_mul_hi_u32 v2, v5, v2
	v_cvt_u32_f32_e32 v4, v3
	v_xor_b32_e32 v3, s7, v0
	v_ashrrev_i32_e32 v3, 31, v3
	v_mul_lo_u32 v6, v2, s8
	v_add_u32_e32 v8, 1, v2
	v_mul_lo_u32 v7, s2, v4
	s_abs_i32 s2, s1
	v_sub_u32_e32 v5, v5, v6
	v_cmp_le_u32_e32 vcc, s8, v5
	v_subrev_u32_e32 v6, s8, v5
	v_cndmask_b32_e32 v2, v2, v8, vcc
	v_cndmask_b32_e32 v5, v5, v6, vcc
	v_add_u32_e32 v6, 1, v2
	v_cmp_le_u32_e32 vcc, s8, v5
	v_cndmask_b32_e32 v2, v2, v6, vcc
	v_xor_b32_e32 v2, v2, v3
	v_sub_u32_e32 v3, v2, v3
	v_mul_lo_u32 v2, s7, v3
	v_mul_hi_u32 v6, v4, v7
	v_cvt_f32_u32_e32 v7, s2
	s_sub_i32 s3, 0, s2
	v_sub_u32_e32 v5, v0, v2
	v_add_u32_e32 v0, v4, v6
	v_rcp_iflag_f32_e32 v2, v7
	v_mul_hi_u32 v0, v5, v0
	s_load_dwordx2 s[6:7], s[4:5], 0x50
	v_mul_f32_e32 v2, 0x4f7ffffe, v2
	v_cvt_u32_f32_e32 v2, v2
	v_mul_lo_u32 v4, v0, s9
	v_add_u32_e32 v7, 1, v0
	v_mul_lo_u32 v6, s3, v2
	v_sub_u32_e32 v4, v5, v4
	v_cmp_le_u32_e32 vcc, s9, v4
	v_cndmask_b32_e32 v7, v0, v7, vcc
	v_mul_hi_u32 v6, v2, v6
	v_ashrrev_i32_e32 v0, 1, v1
	v_sub_u32_e32 v8, 0, v0
	v_max_i32_e32 v8, v0, v8
	v_add_u32_e32 v2, v2, v6
	v_mul_hi_u32 v2, v8, v2
	v_subrev_u32_e32 v6, s9, v4
	v_cndmask_b32_e32 v4, v4, v6, vcc
	v_add_u32_e32 v6, 1, v7
	v_mul_lo_u32 v2, v2, s2
	v_cmp_le_u32_e32 vcc, s9, v4
	v_cndmask_b32_e32 v4, v7, v6, vcc
	v_ashrrev_i32_e32 v1, 31, v1
	v_sub_u32_e32 v2, v8, v2
	v_subrev_u32_e32 v6, s2, v2
	v_cmp_le_u32_e32 vcc, s2, v2
	v_cndmask_b32_e32 v2, v2, v6, vcc
	v_subrev_u32_e32 v6, s2, v2
	v_cmp_le_u32_e32 vcc, s2, v2
	v_cndmask_b32_e32 v2, v2, v6, vcc
	v_xor_b32_e32 v2, v2, v1
	v_sub_u32_e32 v7, v2, v1
	v_cmp_le_i32_e32 vcc, s0, v7
	v_mov_b32_e32 v1, v4
	s_and_saveexec_b64 s[2:3], vcc
	s_cbranch_execz .LBB30_6
; %bb.2:
	s_cmp_gt_i32 s1, -1
	s_cbranch_scc0 .LBB30_4
; %bb.3:
	v_subrev_u32_e32 v7, s0, v7
	v_add_u32_e32 v1, s10, v4
	s_mov_b64 s[0:1], -1
	s_branch .LBB30_5
.LBB30_4:
	s_mov_b64 s[0:1], 0
                                        ; implicit-def: $vgpr7
                                        ; implicit-def: $vgpr1
.LBB30_5:
	s_orn2_b64 s[24:25], s[0:1], exec
.LBB30_6:
	s_or_b64 exec, exec, s[2:3]
	v_mov_b32_e32 v6, 0
	s_and_saveexec_b64 s[22:23], s[24:25]
	s_cbranch_execz .LBB30_8
; %bb.7:
	s_load_dwordx2 s[0:1], s[4:5], 0x38
	v_mov_b32_e32 v2, 0
	v_lshlrev_b64 v[1:2], 2, v[1:2]
	v_mov_b32_e32 v9, 0x3e91f4c4
	v_mov_b32_e32 v10, 0x3ecccdef
	s_waitcnt lgkmcnt(0)
	v_mov_b32_e32 v6, s1
	v_add_co_u32_e32 v1, vcc, s0, v1
	v_addc_co_u32_e32 v2, vcc, v6, v2, vcc
	global_load_dword v6, v[1:2], off
	v_cvt_f32_i32_e32 v1, v7
	v_cmp_neq_f32_e64 vcc, s7, 1.0
	v_mov_b32_e32 v7, s7
	s_mov_b32 s0, 0x3f2aaaab
	v_cndmask_b32_e32 v2, 1.0, v1, vcc
	v_cmp_neq_f32_e32 vcc, 0, v2
	v_cndmask_b32_e32 v1, 1.0, v7, vcc
	v_frexp_mant_f32_e64 v11, |v1|
	v_cmp_gt_f32_e32 vcc, s0, v11
	v_cvt_f64_f32_e64 v[7:8], |v1|
	v_cndmask_b32_e64 v12, 1.0, 2.0, vcc
	v_mul_f32_e32 v11, v11, v12
	v_add_f32_e32 v13, 1.0, v11
	v_rcp_f32_e32 v14, v13
	v_frexp_exp_i32_f64_e32 v7, v[7:8]
	v_add_f32_e32 v12, -1.0, v11
	v_add_f32_e32 v15, -1.0, v13
	v_sub_f32_e32 v8, v11, v15
	v_mul_f32_e32 v11, v12, v14
	v_mul_f32_e32 v15, v13, v11
	v_fma_f32 v13, v11, v13, -v15
	v_fmac_f32_e32 v13, v11, v8
	v_add_f32_e32 v8, v15, v13
	v_subbrev_co_u32_e32 v7, vcc, 0, v7, vcc
	v_sub_f32_e32 v16, v12, v8
	v_sub_f32_e32 v15, v8, v15
	v_cvt_f32_i32_e32 v7, v7
	v_sub_f32_e32 v12, v12, v16
	v_sub_f32_e32 v13, v15, v13
	;; [unrolled: 1-line block ×3, first 2 shown]
	v_add_f32_e32 v8, v13, v8
	v_add_f32_e32 v8, v16, v8
	s_mov_b32 s1, 0x3f317218
	v_mul_f32_e32 v12, 0x3f317218, v7
	v_mul_f32_e32 v8, v14, v8
	v_fma_f32 v13, v7, s1, -v12
	v_add_f32_e32 v14, v11, v8
	v_fmac_f32_e32 v13, 0xb102e308, v7
	v_sub_f32_e32 v7, v14, v11
	v_mul_f32_e32 v11, v14, v14
	v_sub_f32_e32 v7, v8, v7
	v_fma_f32 v8, v14, v14, -v11
	v_add_f32_e32 v15, v7, v7
	v_fmac_f32_e32 v8, v14, v15
	v_add_f32_e32 v15, v11, v8
	v_fmac_f32_e32 v9, 0x3e76c4e1, v15
	v_mul_f32_e32 v17, v14, v15
	v_sub_f32_e32 v11, v15, v11
	v_fmac_f32_e32 v10, v15, v9
	v_fma_f32 v9, v15, v14, -v17
	v_ldexp_f32 v16, v7, 1
	v_sub_f32_e32 v8, v8, v11
	v_fmac_f32_e32 v9, v15, v7
	v_mul_f32_e32 v7, v15, v10
	v_fmac_f32_e32 v9, v8, v14
	v_fma_f32 v11, v15, v10, -v7
	v_add_f32_e32 v15, v17, v9
	v_fmac_f32_e32 v11, v8, v10
	v_sub_f32_e32 v8, v15, v17
	v_add_f32_e32 v10, v7, v11
	v_sub_f32_e32 v8, v9, v8
	v_add_f32_e32 v9, 0x3f2aaaaa, v10
	v_sub_f32_e32 v7, v10, v7
	v_sub_f32_e32 v7, v11, v7
	v_add_f32_e32 v11, 0xbf2aaaaa, v9
	v_add_f32_e32 v7, 0x31739010, v7
	v_sub_f32_e32 v10, v10, v11
	v_add_f32_e32 v7, v7, v10
	v_add_f32_e32 v10, v9, v7
	v_sub_f32_e32 v9, v9, v10
	v_mul_f32_e32 v11, v15, v10
	v_add_f32_e32 v7, v7, v9
	v_fma_f32 v9, v15, v10, -v11
	v_fmac_f32_e32 v9, v15, v7
	v_fmac_f32_e32 v9, v8, v10
	v_add_f32_e32 v8, v12, v13
	v_sub_f32_e32 v10, v8, v12
	v_add_f32_e32 v12, v11, v9
	v_ldexp_f32 v7, v14, 1
	v_sub_f32_e32 v11, v12, v11
	v_sub_f32_e32 v9, v9, v11
	v_add_f32_e32 v11, v7, v12
	v_sub_f32_e32 v7, v11, v7
	v_sub_f32_e32 v7, v12, v7
	v_add_f32_e32 v9, v16, v9
	v_add_f32_e32 v7, v9, v7
	;; [unrolled: 1-line block ×3, first 2 shown]
	v_sub_f32_e32 v11, v9, v11
	v_sub_f32_e32 v7, v7, v11
	v_add_f32_e32 v11, v8, v9
	v_sub_f32_e32 v12, v11, v8
	v_sub_f32_e32 v10, v13, v10
	;; [unrolled: 1-line block ×5, first 2 shown]
	v_add_f32_e32 v8, v9, v8
	v_add_f32_e32 v9, v10, v7
	v_sub_f32_e32 v12, v9, v10
	v_sub_f32_e32 v13, v9, v12
	v_add_f32_e32 v8, v9, v8
	v_sub_f32_e32 v10, v10, v13
	v_sub_f32_e32 v7, v7, v12
	v_add_f32_e32 v9, v11, v8
	v_add_f32_e32 v7, v7, v10
	v_sub_f32_e32 v10, v9, v11
	v_sub_f32_e32 v8, v8, v10
	v_add_f32_e32 v7, v7, v8
	v_add_f32_e32 v8, v9, v7
	v_sub_f32_e32 v9, v8, v9
	v_sub_f32_e32 v7, v7, v9
	v_mul_f32_e32 v9, v2, v8
	v_fma_f32 v8, v2, v8, -v9
	v_fmac_f32_e32 v8, v2, v7
	s_movk_i32 s2, 0x204
	v_add_f32_e32 v7, v9, v8
	v_cmp_class_f32_e64 vcc, v9, s2
	v_sub_f32_e32 v10, v7, v9
	v_cndmask_b32_e32 v7, v7, v9, vcc
	s_mov_b32 s1, 0x42b17218
	v_mov_b32_e32 v9, 0x37000000
	v_cmp_eq_f32_e32 vcc, s1, v7
	v_cndmask_b32_e32 v9, 0, v9, vcc
	v_sub_f32_e32 v8, v8, v10
	v_sub_f32_e32 v10, v7, v9
	s_mov_b32 s3, 0x3fb8aa3b
	v_mul_f32_e32 v11, 0x3fb8aa3b, v10
	v_fma_f32 v12, v10, s3, -v11
	v_rndne_f32_e32 v13, v11
	v_fmac_f32_e32 v12, 0x32a5705f, v10
	v_sub_f32_e32 v11, v11, v13
	v_add_f32_e32 v11, v11, v12
	v_exp_f32_e32 v11, v11
	v_cvt_i32_f32_e32 v12, v13
	s_mov_b32 s0, 0x7f800000
	v_cmp_neq_f32_e64 vcc, |v7|, s0
	s_mov_b32 s0, 0xc2ce8ed0
	v_cndmask_b32_e32 v7, 0, v8, vcc
	v_ldexp_f32 v8, v11, v12
	v_cmp_ngt_f32_e32 vcc, s0, v10
	v_add_f32_e32 v7, v9, v7
	v_cndmask_b32_e32 v8, 0, v8, vcc
	v_mov_b32_e32 v9, 0x7f800000
	v_cmp_nlt_f32_e32 vcc, s1, v10
	v_cndmask_b32_e32 v8, v9, v8, vcc
	v_fma_f32 v7, v8, v7, v8
	v_cmp_class_f32_e64 vcc, v8, s2
	v_cndmask_b32_e32 v7, v7, v8, vcc
	v_trunc_f32_e32 v8, v2
	v_cmp_eq_f32_e32 vcc, v8, v2
	v_mul_f32_e32 v8, 0.5, v2
	v_trunc_f32_e32 v11, v8
	v_cmp_neq_f32_e64 s[0:1], v11, v8
	s_and_b64 s[0:1], vcc, s[0:1]
	v_cndmask_b32_e64 v8, 1.0, v1, s[0:1]
	s_brev_b32 s7, -2
	v_mov_b32_e32 v10, 0x7fc00000
	v_bfi_b32 v7, s7, v7, v8
	v_cndmask_b32_e32 v8, v10, v7, vcc
	v_cmp_gt_f32_e32 vcc, 0, v1
	v_cndmask_b32_e32 v7, v7, v8, vcc
	v_cmp_class_f32_e64 s[24:25], v1, s2
	v_cmp_eq_f32_e32 vcc, 0, v1
	v_cmp_gt_f32_e64 s[2:3], 0, v2
	s_xor_b64 s[2:3], s[2:3], vcc
	s_waitcnt vmcnt(0)
	v_cvt_f32_i32_e32 v6, v6
	v_cndmask_b32_e64 v2, v9, 0, s[2:3]
	v_cndmask_b32_e64 v8, 0, v1, s[0:1]
	v_bfi_b32 v2, s7, v2, v8
	s_or_b64 vcc, vcc, s[24:25]
	v_cndmask_b32_e32 v2, v7, v2, vcc
	v_cmp_o_f32_e32 vcc, v1, v1
	v_cndmask_b32_e32 v1, v10, v2, vcc
	v_mul_f32_e32 v6, v1, v6
.LBB30_8:
	s_or_b64 exec, exec, s[22:23]
	s_waitcnt lgkmcnt(0)
	v_cmp_eq_f32_e64 s[0:1], s17, 0
	v_mul_f32_e32 v1, s16, v6
	s_and_b64 vcc, exec, s[0:1]
	s_cbranch_vccnz .LBB30_10
; %bb.9:
	v_cvt_f32_i32_e32 v2, v0
	v_div_scale_f32 v8, s[0:1], s16, s16, 1.0
	v_mov_b32_e32 v7, s19
	v_sub_f32_e32 v7, s6, v7
	v_subrev_f32_e32 v2, s19, v2
	v_max_f32_e32 v7, 0x3a83126f, v7
	v_div_scale_f32 v9, s[0:1], v7, v7, v2
	v_div_scale_f32 v10, s[0:1], 1.0, s16, 1.0
	v_div_scale_f32 v11, vcc, v2, v7, v2
	s_mov_b32 s2, 0x3f317217
	s_mov_b32 s3, 0x7f800000
	v_rcp_f32_e32 v12, v8
	v_fma_f32 v13, -v8, v12, 1.0
	v_fmac_f32_e32 v12, v13, v12
	v_rcp_f32_e32 v14, v9
	v_mul_f32_e32 v13, v10, v12
	v_fma_f32 v15, -v8, v13, v10
	v_fmac_f32_e32 v13, v15, v12
	v_fma_f32 v15, -v9, v14, 1.0
	v_fmac_f32_e32 v14, v15, v14
	v_fma_f32 v8, -v8, v13, v10
	v_mul_f32_e32 v10, v11, v14
	v_fma_f32 v15, -v9, v10, v11
	v_fmac_f32_e32 v10, v15, v14
	v_fma_f32 v9, -v9, v10, v11
	v_div_fmas_f32 v9, v9, v14, v10
	s_mov_b64 vcc, s[0:1]
	v_div_fmas_f32 v8, v8, v12, v13
	s_mov_b32 s0, 0x800000
	v_mov_b32_e32 v10, 0x41b17218
	v_div_fixup_f32 v2, v9, v7, v2 clamp
	v_sub_f32_e32 v2, 1.0, v2
	v_div_fixup_f32 v7, v8, s16, 1.0
	v_cmp_gt_f32_e32 vcc, s0, v7
	s_and_b64 s[0:1], vcc, exec
	s_cselect_b32 s0, 32, 0
	v_ldexp_f32 v7, v7, s0
	v_log_f32_e32 v7, v7
	v_mul_f32_e32 v8, s17, v2
	v_fma_f32 v2, -s17, v2, 1.0
	v_mul_f32_e32 v1, v2, v1
	v_mul_f32_e32 v2, 0x3f317217, v7
	v_fma_f32 v2, v7, s2, -v2
	v_fmac_f32_e32 v2, 0x3377d1cf, v7
	v_cndmask_b32_e32 v9, 0, v10, vcc
	v_fmac_f32_e32 v2, 0x3f317217, v7
	v_cmp_lt_f32_e64 vcc, |v7|, s3
	v_cndmask_b32_e32 v2, v7, v2, vcc
	v_sub_f32_e32 v2, v2, v9
	s_mov_b32 s0, 0x3dcccccd
	v_fma_f32 v2, v2, s0, 1.0
	v_fmac_f32_e32 v1, v8, v6
	v_mul_f32_e32 v2, s18, v2
	s_branch .LBB30_11
.LBB30_10:
	v_mov_b32_e32 v2, s18
.LBB30_11:
	v_and_b32_e32 v6, 0x7fffffff, v1
	s_brev_b32 s0, 18
	v_cmp_nlt_f32_e64 s[16:17], |v1|, s0
	v_lshrrev_b32_e32 v9, 23, v6
                                        ; implicit-def: $vgpr8
                                        ; implicit-def: $vgpr7
	s_and_saveexec_b64 s[0:1], s[16:17]
	s_xor_b64 s[18:19], exec, s[0:1]
	s_cbranch_execz .LBB30_13
; %bb.12:
	v_and_b32_e32 v7, 0x7fffff, v6
	v_or_b32_e32 v18, 0x800000, v7
	s_mov_b32 s0, 0xfe5163ab
	v_mad_u64_u32 v[7:8], s[0:1], v18, s0, 0
	v_mov_b32_e32 v11, 0
	s_mov_b32 s0, 0x3c439041
	v_mov_b32_e32 v10, v8
	v_mad_u64_u32 v[12:13], s[0:1], v18, s0, v[10:11]
	s_mov_b32 s0, 0xdb629599
	v_add_u32_e32 v8, 0xffffff88, v9
	v_mov_b32_e32 v10, v13
	v_mad_u64_u32 v[13:14], s[0:1], v18, s0, v[10:11]
	s_mov_b32 s0, 0xf534ddc0
	v_not_b32_e32 v17, 63
	v_mov_b32_e32 v10, v14
	v_mad_u64_u32 v[14:15], s[0:1], v18, s0, v[10:11]
	s_mov_b32 s0, 0xfc2757d1
	v_cmp_lt_u32_e32 vcc, 63, v8
	v_mov_b32_e32 v10, v15
	v_mad_u64_u32 v[15:16], s[0:1], v18, s0, v[10:11]
	v_cndmask_b32_e32 v10, 0, v17, vcc
	v_add_u32_e32 v8, v10, v8
	v_mov_b32_e32 v10, v16
	s_mov_b32 s0, 0x4e441529
	v_mad_u64_u32 v[16:17], s[0:1], v18, s0, v[10:11]
	v_not_b32_e32 v19, 31
	v_cmp_lt_u32_e64 s[0:1], 31, v8
	v_cndmask_b32_e64 v10, 0, v19, s[0:1]
	v_add_u32_e32 v8, v10, v8
	v_mov_b32_e32 v10, v17
	s_mov_b32 s2, 0xa2f9836e
	v_mad_u64_u32 v[10:11], s[2:3], v18, s2, v[10:11]
	v_cmp_lt_u32_e64 s[2:3], 31, v8
	v_cndmask_b32_e64 v17, 0, v19, s[2:3]
	v_add_u32_e32 v8, v17, v8
	v_cndmask_b32_e32 v17, v16, v14, vcc
	v_cndmask_b32_e32 v10, v10, v15, vcc
	;; [unrolled: 1-line block ×3, first 2 shown]
	v_cndmask_b32_e64 v18, v10, v17, s[0:1]
	v_cndmask_b32_e64 v10, v11, v10, s[0:1]
	v_cndmask_b32_e32 v11, v15, v13, vcc
	v_cndmask_b32_e64 v15, v17, v11, s[0:1]
	v_cndmask_b32_e64 v10, v10, v18, s[2:3]
	;; [unrolled: 1-line block ×3, first 2 shown]
	v_sub_u32_e32 v17, 32, v8
	v_alignbit_b32 v18, v10, v16, v17
	v_cmp_eq_u32_e64 s[6:7], 0, v8
	v_cndmask_b32_e64 v8, v18, v10, s[6:7]
	v_cndmask_b32_e32 v10, v14, v12, vcc
	v_cndmask_b32_e64 v11, v11, v10, s[0:1]
	v_cndmask_b32_e64 v12, v15, v11, s[2:3]
	v_alignbit_b32 v14, v16, v12, v17
	v_cndmask_b32_e32 v7, v13, v7, vcc
	v_cndmask_b32_e64 v14, v14, v16, s[6:7]
	v_bfe_u32 v18, v8, 29, 1
	v_cndmask_b32_e64 v7, v10, v7, s[0:1]
	v_alignbit_b32 v15, v8, v14, 30
	v_sub_u32_e32 v19, 0, v18
	v_cndmask_b32_e64 v7, v11, v7, s[2:3]
	v_xor_b32_e32 v15, v15, v19
	v_alignbit_b32 v10, v12, v7, v17
	v_cndmask_b32_e64 v10, v10, v12, s[6:7]
	v_ffbh_u32_e32 v12, v15
	v_alignbit_b32 v11, v14, v10, 30
	v_min_u32_e32 v12, 32, v12
	v_alignbit_b32 v7, v10, v7, 30
	v_xor_b32_e32 v11, v11, v19
	v_sub_u32_e32 v13, 31, v12
	v_xor_b32_e32 v7, v7, v19
	v_alignbit_b32 v14, v15, v11, v13
	v_alignbit_b32 v7, v11, v7, v13
	;; [unrolled: 1-line block ×3, first 2 shown]
	v_ffbh_u32_e32 v11, v10
	v_min_u32_e32 v11, 32, v11
	v_lshrrev_b32_e32 v16, 29, v8
	v_not_b32_e32 v13, v11
	v_alignbit_b32 v7, v10, v7, v13
	v_lshlrev_b32_e32 v10, 31, v16
	v_or_b32_e32 v13, 0x33000000, v10
	v_add_lshl_u32 v11, v11, v12, 23
	v_lshrrev_b32_e32 v7, 9, v7
	v_sub_u32_e32 v11, v13, v11
	v_or_b32_e32 v10, 0.5, v10
	v_lshlrev_b32_e32 v12, 23, v12
	v_or_b32_e32 v7, v11, v7
	v_lshrrev_b32_e32 v11, 9, v14
	v_sub_u32_e32 v10, v10, v12
	v_or_b32_e32 v10, v11, v10
	s_mov_b32 s0, 0x3fc90fda
	v_mul_f32_e32 v11, 0x3fc90fda, v10
	v_fma_f32 v12, v10, s0, -v11
	v_fmac_f32_e32 v12, 0x33a22168, v10
	v_fmac_f32_e32 v12, 0x3fc90fda, v7
	v_lshrrev_b32_e32 v8, 30, v8
	v_add_f32_e32 v7, v11, v12
	v_add_u32_e32 v8, v18, v8
	s_andn2_saveexec_b64 s[0:1], s[18:19]
	s_cbranch_execz .LBB30_15
	s_branch .LBB30_14
.LBB30_13:
	s_andn2_saveexec_b64 s[0:1], s[18:19]
	s_cbranch_execz .LBB30_15
.LBB30_14:
	s_mov_b32 s2, 0x3f22f983
	v_mul_f32_e64 v7, |v1|, s2
	v_rndne_f32_e32 v10, v7
	s_mov_b32 s2, 0xbfc90fda
	v_cvt_i32_f32_e32 v8, v10
	v_fma_f32 v7, v10, s2, |v1|
	v_fmac_f32_e32 v7, 0xb3a22168, v10
	v_fmac_f32_e32 v7, 0xa7c234c4, v10
.LBB30_15:
	s_or_b64 exec, exec, s[0:1]
                                        ; implicit-def: $vgpr11
                                        ; implicit-def: $vgpr10
	s_and_saveexec_b64 s[0:1], s[16:17]
	s_xor_b64 s[16:17], exec, s[0:1]
	s_cbranch_execz .LBB30_17
; %bb.16:
	v_and_b32_e32 v10, 0x7fffff, v6
	v_or_b32_e32 v19, 0x800000, v10
	s_mov_b32 s0, 0xfe5163ab
	v_mad_u64_u32 v[10:11], s[0:1], v19, s0, 0
	v_mov_b32_e32 v12, 0
	s_mov_b32 s0, 0x3c439041
	v_mad_u64_u32 v[13:14], s[0:1], v19, s0, v[11:12]
	s_mov_b32 s0, 0xdb629599
	v_add_u32_e32 v9, 0xffffff88, v9
	v_mov_b32_e32 v11, v14
	v_mad_u64_u32 v[14:15], s[0:1], v19, s0, v[11:12]
	s_mov_b32 s0, 0xf534ddc0
	v_not_b32_e32 v18, 63
	v_mov_b32_e32 v11, v15
	v_mad_u64_u32 v[15:16], s[0:1], v19, s0, v[11:12]
	s_mov_b32 s0, 0xfc2757d1
	v_cmp_lt_u32_e32 vcc, 63, v9
	v_mov_b32_e32 v11, v16
	v_mad_u64_u32 v[16:17], s[0:1], v19, s0, v[11:12]
	v_cndmask_b32_e32 v11, 0, v18, vcc
	v_add_u32_e32 v9, v11, v9
	v_mov_b32_e32 v11, v17
	s_mov_b32 s0, 0x4e441529
	v_mad_u64_u32 v[17:18], s[0:1], v19, s0, v[11:12]
	v_not_b32_e32 v20, 31
	v_cmp_lt_u32_e64 s[0:1], 31, v9
	v_cndmask_b32_e64 v11, 0, v20, s[0:1]
	v_add_u32_e32 v9, v11, v9
	v_mov_b32_e32 v11, v18
	s_mov_b32 s2, 0xa2f9836e
	v_mad_u64_u32 v[11:12], s[2:3], v19, s2, v[11:12]
	v_cmp_lt_u32_e64 s[2:3], 31, v9
	v_cndmask_b32_e64 v18, 0, v20, s[2:3]
	v_add_u32_e32 v9, v18, v9
	v_cndmask_b32_e32 v18, v17, v15, vcc
	v_cndmask_b32_e32 v11, v11, v16, vcc
	;; [unrolled: 1-line block ×3, first 2 shown]
	v_cndmask_b32_e64 v19, v11, v18, s[0:1]
	v_cndmask_b32_e64 v11, v12, v11, s[0:1]
	v_cndmask_b32_e32 v12, v16, v14, vcc
	v_cndmask_b32_e64 v16, v18, v12, s[0:1]
	v_cndmask_b32_e64 v11, v11, v19, s[2:3]
	;; [unrolled: 1-line block ×3, first 2 shown]
	v_sub_u32_e32 v18, 32, v9
	v_alignbit_b32 v19, v11, v17, v18
	v_cmp_eq_u32_e64 s[6:7], 0, v9
	v_cndmask_b32_e64 v9, v19, v11, s[6:7]
	v_cndmask_b32_e32 v11, v15, v13, vcc
	v_cndmask_b32_e64 v12, v12, v11, s[0:1]
	v_cndmask_b32_e64 v13, v16, v12, s[2:3]
	v_alignbit_b32 v15, v17, v13, v18
	v_cndmask_b32_e32 v10, v14, v10, vcc
	v_cndmask_b32_e64 v15, v15, v17, s[6:7]
	v_bfe_u32 v19, v9, 29, 1
	v_cndmask_b32_e64 v10, v11, v10, s[0:1]
	v_alignbit_b32 v16, v9, v15, 30
	v_sub_u32_e32 v20, 0, v19
	v_cndmask_b32_e64 v10, v12, v10, s[2:3]
	v_xor_b32_e32 v16, v16, v20
	v_alignbit_b32 v11, v13, v10, v18
	v_cndmask_b32_e64 v11, v11, v13, s[6:7]
	v_ffbh_u32_e32 v13, v16
	v_alignbit_b32 v12, v15, v11, 30
	v_min_u32_e32 v13, 32, v13
	v_alignbit_b32 v10, v11, v10, 30
	v_xor_b32_e32 v12, v12, v20
	v_sub_u32_e32 v14, 31, v13
	v_xor_b32_e32 v10, v10, v20
	v_alignbit_b32 v15, v16, v12, v14
	v_alignbit_b32 v10, v12, v10, v14
	;; [unrolled: 1-line block ×3, first 2 shown]
	v_ffbh_u32_e32 v12, v11
	v_min_u32_e32 v12, 32, v12
	v_lshrrev_b32_e32 v17, 29, v9
	v_not_b32_e32 v14, v12
	v_alignbit_b32 v10, v11, v10, v14
	v_lshlrev_b32_e32 v11, 31, v17
	v_or_b32_e32 v14, 0x33000000, v11
	v_add_lshl_u32 v12, v12, v13, 23
	v_lshrrev_b32_e32 v10, 9, v10
	v_sub_u32_e32 v12, v14, v12
	v_or_b32_e32 v11, 0.5, v11
	v_lshlrev_b32_e32 v13, 23, v13
	v_or_b32_e32 v10, v12, v10
	v_lshrrev_b32_e32 v12, 9, v15
	v_sub_u32_e32 v11, v11, v13
	v_or_b32_e32 v11, v12, v11
	s_mov_b32 s0, 0x3fc90fda
	v_mul_f32_e32 v12, 0x3fc90fda, v11
	v_fma_f32 v13, v11, s0, -v12
	v_fmac_f32_e32 v13, 0x33a22168, v11
	v_fmac_f32_e32 v13, 0x3fc90fda, v10
	v_lshrrev_b32_e32 v9, 30, v9
	v_add_f32_e32 v10, v12, v13
	v_add_u32_e32 v11, v19, v9
	s_andn2_saveexec_b64 s[0:1], s[16:17]
	s_cbranch_execnz .LBB30_18
	s_branch .LBB30_19
.LBB30_17:
	s_andn2_saveexec_b64 s[0:1], s[16:17]
	s_cbranch_execz .LBB30_19
.LBB30_18:
	s_mov_b32 s2, 0x3f22f983
	v_mul_f32_e64 v9, |v1|, s2
	v_rndne_f32_e32 v9, v9
	s_mov_b32 s2, 0xbfc90fda
	v_cvt_i32_f32_e32 v11, v9
	v_fma_f32 v10, v9, s2, |v1|
	v_fmac_f32_e32 v10, 0xb3a22168, v9
	v_fmac_f32_e32 v10, 0xa7c234c4, v9
.LBB30_19:
	s_or_b64 exec, exec, s[0:1]
	v_mul_lo_u32 v9, v4, s9
	v_mul_lo_u32 v14, v4, s12
	s_load_dwordx4 s[0:3], s[4:5], 0x0
	v_mad_u64_u32 v[12:13], s[4:5], v3, s13, v[0:1]
	v_sub_u32_e32 v5, v5, v9
	v_mul_lo_u32 v9, v5, s11
	s_waitcnt lgkmcnt(0)
	v_mov_b32_e32 v15, s1
	s_ashr_i32 s1, s21, 31
	v_mov_b32_e32 v18, 0x3c0881c4
	v_add3_u32 v12, v12, v14, v9
	v_ashrrev_i32_e32 v13, 31, v12
	v_lshlrev_b64 v[12:13], 2, v[12:13]
	v_mov_b32_e32 v19, 0xbe2aaa9d
	v_add_co_u32_e32 v12, vcc, s0, v12
	s_mov_b32 s0, s21
	v_addc_co_u32_e32 v13, vcc, v15, v13, vcc
	s_lshl_b64 s[0:1], s[0:1], 2
	v_mov_b32_e32 v9, s1
	v_add_co_u32_e32 v14, vcc, s0, v12
	v_addc_co_u32_e32 v15, vcc, v13, v9, vcc
	global_load_dword v16, v[12:13], off
	global_load_dword v17, v[14:15], off
	v_mul_f32_e32 v14, v7, v7
	v_mov_b32_e32 v15, 0x3c0881c4
	v_mad_u64_u32 v[12:13], s[4:5], v3, s20, v[0:1]
	v_mul_f32_e32 v0, v10, v10
	v_fmac_f32_e32 v18, 0xb94c1982, v14
	v_fmac_f32_e32 v15, 0xb94c1982, v0
	v_fma_f32 v3, v14, v18, v19
	v_mov_b32_e32 v13, 0xbab64f3b
	v_lshlrev_b32_e32 v18, 30, v11
	v_mov_b32_e32 v20, 0xbab64f3b
	v_fmac_f32_e32 v19, v0, v15
	v_fmac_f32_e32 v13, 0x37d75334, v14
	v_mov_b32_e32 v15, 0x3d2aabf7
	v_xor_b32_e32 v6, v6, v1
	v_and_b32_e32 v18, 0x80000000, v18
	v_fmac_f32_e32 v20, 0x37d75334, v0
	v_fma_f32 v13, v14, v13, v15
	v_xor_b32_e32 v6, v6, v18
	v_mov_b32_e32 v18, 0xbf000004
	v_mul_f32_e32 v3, v14, v3
	v_fmac_f32_e32 v15, v0, v20
	v_fma_f32 v13, v14, v13, v18
	v_fmac_f32_e32 v7, v7, v3
	v_and_b32_e32 v3, 1, v8
	v_fmac_f32_e32 v18, v0, v15
	v_fma_f32 v13, v14, v13, 1.0
	v_and_b32_e32 v11, 1, v11
	v_mul_f32_e32 v15, v0, v19
	v_cmp_eq_u32_e32 vcc, 0, v3
	v_mul_lo_u32 v4, v4, s15
	v_fmac_f32_e32 v10, v10, v15
	v_fma_f32 v0, v0, v18, 1.0
	v_cndmask_b32_e64 v3, -v7, v13, vcc
	v_mul_lo_u32 v5, v5, s14
	v_cmp_eq_u32_e32 vcc, 0, v11
	v_lshlrev_b32_e32 v8, 30, v8
	s_movk_i32 s1, 0x1f8
	v_cndmask_b32_e32 v0, v0, v10, vcc
	v_mov_b32_e32 v14, 0x7fc00000
	v_and_b32_e32 v8, 0x80000000, v8
	v_xor_b32_e32 v0, v6, v0
	v_cmp_class_f32_e64 vcc, v1, s1
	v_xor_b32_e32 v3, v8, v3
	v_cndmask_b32_e32 v0, v14, v0, vcc
	v_cndmask_b32_e32 v1, v14, v3, vcc
	v_mul_f32_e64 v8, v0, -v2
	v_add3_u32 v0, v12, v4, v5
	v_mul_f32_e32 v6, v2, v1
	v_ashrrev_i32_e32 v1, 31, v0
	v_lshlrev_b64 v[0:1], 2, v[0:1]
	v_mov_b32_e32 v7, s3
	v_add_co_u32_e32 v0, vcc, s2, v0
	v_addc_co_u32_e32 v1, vcc, v7, v1, vcc
	v_add_co_u32_e32 v2, vcc, s0, v0
	v_addc_co_u32_e32 v3, vcc, v1, v9, vcc
	s_waitcnt vmcnt(1)
	v_mul_f32_e32 v4, v16, v8
	s_waitcnt vmcnt(0)
	v_mul_f32_e32 v5, v17, v8
	v_fma_f32 v5, v6, v16, -v5
	v_fmac_f32_e32 v4, v6, v17
	global_store_dword v[0:1], v5, off
	global_store_dword v[2:3], v4, off
.LBB30_20:
	s_endpgm
	.section	.rodata,"a",@progbits
	.p2align	6, 0x0
	.amdhsa_kernel _ZL11rope_visionILb0ELb0EfEvPKT1_PS0_iiiiiiiiiiPKifff14rope_corr_dimsfPKf14mrope_sections
		.amdhsa_group_segment_fixed_size 0
		.amdhsa_private_segment_fixed_size 0
		.amdhsa_kernarg_size 368
		.amdhsa_user_sgpr_count 6
		.amdhsa_user_sgpr_private_segment_buffer 1
		.amdhsa_user_sgpr_dispatch_ptr 0
		.amdhsa_user_sgpr_queue_ptr 0
		.amdhsa_user_sgpr_kernarg_segment_ptr 1
		.amdhsa_user_sgpr_dispatch_id 0
		.amdhsa_user_sgpr_flat_scratch_init 0
		.amdhsa_user_sgpr_private_segment_size 0
		.amdhsa_uses_dynamic_stack 0
		.amdhsa_system_sgpr_private_segment_wavefront_offset 0
		.amdhsa_system_sgpr_workgroup_id_x 1
		.amdhsa_system_sgpr_workgroup_id_y 1
		.amdhsa_system_sgpr_workgroup_id_z 0
		.amdhsa_system_sgpr_workgroup_info 0
		.amdhsa_system_vgpr_workitem_id 1
		.amdhsa_next_free_vgpr 21
		.amdhsa_next_free_sgpr 26
		.amdhsa_reserve_vcc 1
		.amdhsa_reserve_flat_scratch 0
		.amdhsa_float_round_mode_32 0
		.amdhsa_float_round_mode_16_64 0
		.amdhsa_float_denorm_mode_32 3
		.amdhsa_float_denorm_mode_16_64 3
		.amdhsa_dx10_clamp 1
		.amdhsa_ieee_mode 1
		.amdhsa_fp16_overflow 0
		.amdhsa_exception_fp_ieee_invalid_op 0
		.amdhsa_exception_fp_denorm_src 0
		.amdhsa_exception_fp_ieee_div_zero 0
		.amdhsa_exception_fp_ieee_overflow 0
		.amdhsa_exception_fp_ieee_underflow 0
		.amdhsa_exception_fp_ieee_inexact 0
		.amdhsa_exception_int_div_zero 0
	.end_amdhsa_kernel
	.section	.text._ZL11rope_visionILb0ELb0EfEvPKT1_PS0_iiiiiiiiiiPKifff14rope_corr_dimsfPKf14mrope_sections,"axG",@progbits,_ZL11rope_visionILb0ELb0EfEvPKT1_PS0_iiiiiiiiiiPKifff14rope_corr_dimsfPKf14mrope_sections,comdat
.Lfunc_end30:
	.size	_ZL11rope_visionILb0ELb0EfEvPKT1_PS0_iiiiiiiiiiPKifff14rope_corr_dimsfPKf14mrope_sections, .Lfunc_end30-_ZL11rope_visionILb0ELb0EfEvPKT1_PS0_iiiiiiiiiiPKifff14rope_corr_dimsfPKf14mrope_sections
                                        ; -- End function
	.set _ZL11rope_visionILb0ELb0EfEvPKT1_PS0_iiiiiiiiiiPKifff14rope_corr_dimsfPKf14mrope_sections.num_vgpr, 21
	.set _ZL11rope_visionILb0ELb0EfEvPKT1_PS0_iiiiiiiiiiPKifff14rope_corr_dimsfPKf14mrope_sections.num_agpr, 0
	.set _ZL11rope_visionILb0ELb0EfEvPKT1_PS0_iiiiiiiiiiPKifff14rope_corr_dimsfPKf14mrope_sections.numbered_sgpr, 26
	.set _ZL11rope_visionILb0ELb0EfEvPKT1_PS0_iiiiiiiiiiPKifff14rope_corr_dimsfPKf14mrope_sections.num_named_barrier, 0
	.set _ZL11rope_visionILb0ELb0EfEvPKT1_PS0_iiiiiiiiiiPKifff14rope_corr_dimsfPKf14mrope_sections.private_seg_size, 0
	.set _ZL11rope_visionILb0ELb0EfEvPKT1_PS0_iiiiiiiiiiPKifff14rope_corr_dimsfPKf14mrope_sections.uses_vcc, 1
	.set _ZL11rope_visionILb0ELb0EfEvPKT1_PS0_iiiiiiiiiiPKifff14rope_corr_dimsfPKf14mrope_sections.uses_flat_scratch, 0
	.set _ZL11rope_visionILb0ELb0EfEvPKT1_PS0_iiiiiiiiiiPKifff14rope_corr_dimsfPKf14mrope_sections.has_dyn_sized_stack, 0
	.set _ZL11rope_visionILb0ELb0EfEvPKT1_PS0_iiiiiiiiiiPKifff14rope_corr_dimsfPKf14mrope_sections.has_recursion, 0
	.set _ZL11rope_visionILb0ELb0EfEvPKT1_PS0_iiiiiiiiiiPKifff14rope_corr_dimsfPKf14mrope_sections.has_indirect_call, 0
	.section	.AMDGPU.csdata,"",@progbits
; Kernel info:
; codeLenInByte = 3728
; TotalNumSgprs: 30
; NumVgprs: 21
; ScratchSize: 0
; MemoryBound: 0
; FloatMode: 240
; IeeeMode: 1
; LDSByteSize: 0 bytes/workgroup (compile time only)
; SGPRBlocks: 3
; VGPRBlocks: 5
; NumSGPRsForWavesPerEU: 30
; NumVGPRsForWavesPerEU: 21
; Occupancy: 10
; WaveLimiterHint : 0
; COMPUTE_PGM_RSRC2:SCRATCH_EN: 0
; COMPUTE_PGM_RSRC2:USER_SGPR: 6
; COMPUTE_PGM_RSRC2:TRAP_HANDLER: 0
; COMPUTE_PGM_RSRC2:TGID_X_EN: 1
; COMPUTE_PGM_RSRC2:TGID_Y_EN: 1
; COMPUTE_PGM_RSRC2:TGID_Z_EN: 0
; COMPUTE_PGM_RSRC2:TIDIG_COMP_CNT: 1
	.section	.text._ZL11rope_visionILb0ELb1EfEvPKT1_PS0_iiiiiiiiiiPKifff14rope_corr_dimsfPKf14mrope_sections,"axG",@progbits,_ZL11rope_visionILb0ELb1EfEvPKT1_PS0_iiiiiiiiiiPKifff14rope_corr_dimsfPKf14mrope_sections,comdat
	.globl	_ZL11rope_visionILb0ELb1EfEvPKT1_PS0_iiiiiiiiiiPKifff14rope_corr_dimsfPKf14mrope_sections ; -- Begin function _ZL11rope_visionILb0ELb1EfEvPKT1_PS0_iiiiiiiiiiPKifff14rope_corr_dimsfPKf14mrope_sections
	.p2align	8
	.type	_ZL11rope_visionILb0ELb1EfEvPKT1_PS0_iiiiiiiiiiPKifff14rope_corr_dimsfPKf14mrope_sections,@function
_ZL11rope_visionILb0ELb1EfEvPKT1_PS0_iiiiiiiiiiPKifff14rope_corr_dimsfPKf14mrope_sections: ; @_ZL11rope_visionILb0ELb1EfEvPKT1_PS0_iiiiiiiiiiPKifff14rope_corr_dimsfPKf14mrope_sections
; %bb.0:
	s_load_dword s0, s[4:5], 0x7c
	s_load_dwordx8 s[8:15], s[4:5], 0x10
	s_add_u32 s2, s4, 0x70
	s_addc_u32 s3, s5, 0
	s_waitcnt lgkmcnt(0)
	s_lshr_b32 s0, s0, 16
	s_mul_i32 s7, s7, s0
	v_add_lshl_u32 v1, s7, v1, 1
	v_cmp_gt_i32_e32 vcc, s8, v1
	s_and_saveexec_b64 s[0:1], vcc
	s_cbranch_execz .LBB31_20
; %bb.1:
	s_mul_i32 s7, s10, s9
	s_abs_i32 s8, s7
	v_cvt_f32_u32_e32 v2, s8
	s_load_dwordx2 s[0:1], s[4:5], 0x60
	s_load_dword s16, s[2:3], 0xc
	s_sub_i32 s3, 0, s8
	v_cvt_f32_u32_e32 v3, s9
	v_rcp_iflag_f32_e32 v2, v2
	s_sub_i32 s2, 0, s9
	s_waitcnt lgkmcnt(0)
	s_add_i32 s1, s1, s0
	v_rcp_iflag_f32_e32 v3, v3
	v_mul_f32_e32 v2, 0x4f7ffffe, v2
	v_cvt_u32_f32_e32 v2, v2
	s_mov_b64 s[24:25], -1
	v_mul_f32_e32 v3, 0x4f7ffffe, v3
	v_mul_lo_u32 v4, s3, v2
	s_and_b32 s3, s16, 0xffff
	s_mul_i32 s6, s6, s3
	v_add_u32_e32 v0, s6, v0
	v_mul_hi_u32 v4, v2, v4
	v_sub_u32_e32 v5, 0, v0
	v_max_i32_e32 v5, v0, v5
	s_load_dwordx2 s[20:21], s[4:5], 0x30
	s_load_dwordx4 s[16:19], s[4:5], 0x40
	v_add_u32_e32 v2, v2, v4
	v_mul_hi_u32 v2, v5, v2
	v_cvt_u32_f32_e32 v4, v3
	v_xor_b32_e32 v3, s7, v0
	v_ashrrev_i32_e32 v3, 31, v3
	v_mul_lo_u32 v6, v2, s8
	v_add_u32_e32 v8, 1, v2
	v_mul_lo_u32 v7, s2, v4
	s_abs_i32 s2, s1
	v_sub_u32_e32 v5, v5, v6
	v_cmp_le_u32_e32 vcc, s8, v5
	v_subrev_u32_e32 v6, s8, v5
	v_cndmask_b32_e32 v2, v2, v8, vcc
	v_cndmask_b32_e32 v5, v5, v6, vcc
	v_add_u32_e32 v6, 1, v2
	v_cmp_le_u32_e32 vcc, s8, v5
	v_cndmask_b32_e32 v2, v2, v6, vcc
	v_xor_b32_e32 v2, v2, v3
	v_sub_u32_e32 v3, v2, v3
	v_mul_lo_u32 v2, s7, v3
	v_mul_hi_u32 v6, v4, v7
	v_cvt_f32_u32_e32 v7, s2
	s_sub_i32 s3, 0, s2
	v_sub_u32_e32 v5, v0, v2
	v_add_u32_e32 v0, v4, v6
	v_rcp_iflag_f32_e32 v2, v7
	v_mul_hi_u32 v0, v5, v0
	s_load_dwordx2 s[6:7], s[4:5], 0x50
	v_mul_f32_e32 v2, 0x4f7ffffe, v2
	v_cvt_u32_f32_e32 v2, v2
	v_mul_lo_u32 v4, v0, s9
	v_add_u32_e32 v7, 1, v0
	v_mul_lo_u32 v6, s3, v2
	v_sub_u32_e32 v4, v5, v4
	v_cmp_le_u32_e32 vcc, s9, v4
	v_cndmask_b32_e32 v7, v0, v7, vcc
	v_mul_hi_u32 v6, v2, v6
	v_ashrrev_i32_e32 v0, 1, v1
	v_sub_u32_e32 v8, 0, v0
	v_max_i32_e32 v8, v0, v8
	v_add_u32_e32 v2, v2, v6
	v_mul_hi_u32 v2, v8, v2
	v_subrev_u32_e32 v6, s9, v4
	v_cndmask_b32_e32 v4, v4, v6, vcc
	v_add_u32_e32 v6, 1, v7
	v_mul_lo_u32 v2, v2, s2
	v_cmp_le_u32_e32 vcc, s9, v4
	v_cndmask_b32_e32 v4, v7, v6, vcc
	v_ashrrev_i32_e32 v1, 31, v1
	v_sub_u32_e32 v2, v8, v2
	v_subrev_u32_e32 v6, s2, v2
	v_cmp_le_u32_e32 vcc, s2, v2
	v_cndmask_b32_e32 v2, v2, v6, vcc
	v_subrev_u32_e32 v6, s2, v2
	v_cmp_le_u32_e32 vcc, s2, v2
	v_cndmask_b32_e32 v2, v2, v6, vcc
	v_xor_b32_e32 v2, v2, v1
	v_sub_u32_e32 v7, v2, v1
	v_cmp_le_i32_e32 vcc, s0, v7
	v_mov_b32_e32 v1, v4
	s_and_saveexec_b64 s[2:3], vcc
	s_cbranch_execz .LBB31_6
; %bb.2:
	s_cmp_gt_i32 s1, -1
	s_cbranch_scc0 .LBB31_4
; %bb.3:
	v_subrev_u32_e32 v7, s0, v7
	v_add_u32_e32 v1, s10, v4
	s_mov_b64 s[0:1], -1
	s_branch .LBB31_5
.LBB31_4:
	s_mov_b64 s[0:1], 0
                                        ; implicit-def: $vgpr7
                                        ; implicit-def: $vgpr1
.LBB31_5:
	s_orn2_b64 s[24:25], s[0:1], exec
.LBB31_6:
	s_or_b64 exec, exec, s[2:3]
	v_mov_b32_e32 v6, 0
	s_and_saveexec_b64 s[22:23], s[24:25]
	s_cbranch_execz .LBB31_8
; %bb.7:
	s_load_dwordx2 s[0:1], s[4:5], 0x38
	v_mov_b32_e32 v2, 0
	v_lshlrev_b64 v[1:2], 2, v[1:2]
	v_mov_b32_e32 v9, 0x3e91f4c4
	v_mov_b32_e32 v10, 0x3ecccdef
	s_waitcnt lgkmcnt(0)
	v_mov_b32_e32 v6, s1
	v_add_co_u32_e32 v1, vcc, s0, v1
	v_addc_co_u32_e32 v2, vcc, v6, v2, vcc
	global_load_dword v6, v[1:2], off
	v_cvt_f32_i32_e32 v1, v7
	v_cmp_neq_f32_e64 vcc, s7, 1.0
	v_mov_b32_e32 v7, s7
	s_mov_b32 s0, 0x3f2aaaab
	v_cndmask_b32_e32 v2, 1.0, v1, vcc
	v_cmp_neq_f32_e32 vcc, 0, v2
	v_cndmask_b32_e32 v1, 1.0, v7, vcc
	v_frexp_mant_f32_e64 v11, |v1|
	v_cmp_gt_f32_e32 vcc, s0, v11
	v_cvt_f64_f32_e64 v[7:8], |v1|
	v_cndmask_b32_e64 v12, 1.0, 2.0, vcc
	v_mul_f32_e32 v11, v11, v12
	v_add_f32_e32 v13, 1.0, v11
	v_rcp_f32_e32 v14, v13
	v_frexp_exp_i32_f64_e32 v7, v[7:8]
	v_add_f32_e32 v12, -1.0, v11
	v_add_f32_e32 v15, -1.0, v13
	v_sub_f32_e32 v8, v11, v15
	v_mul_f32_e32 v11, v12, v14
	v_mul_f32_e32 v15, v13, v11
	v_fma_f32 v13, v11, v13, -v15
	v_fmac_f32_e32 v13, v11, v8
	v_add_f32_e32 v8, v15, v13
	v_subbrev_co_u32_e32 v7, vcc, 0, v7, vcc
	v_sub_f32_e32 v16, v12, v8
	v_sub_f32_e32 v15, v8, v15
	v_cvt_f32_i32_e32 v7, v7
	v_sub_f32_e32 v12, v12, v16
	v_sub_f32_e32 v13, v15, v13
	;; [unrolled: 1-line block ×3, first 2 shown]
	v_add_f32_e32 v8, v13, v8
	v_add_f32_e32 v8, v16, v8
	s_mov_b32 s1, 0x3f317218
	v_mul_f32_e32 v12, 0x3f317218, v7
	v_mul_f32_e32 v8, v14, v8
	v_fma_f32 v13, v7, s1, -v12
	v_add_f32_e32 v14, v11, v8
	v_fmac_f32_e32 v13, 0xb102e308, v7
	v_sub_f32_e32 v7, v14, v11
	v_mul_f32_e32 v11, v14, v14
	v_sub_f32_e32 v7, v8, v7
	v_fma_f32 v8, v14, v14, -v11
	v_add_f32_e32 v15, v7, v7
	v_fmac_f32_e32 v8, v14, v15
	v_add_f32_e32 v15, v11, v8
	v_fmac_f32_e32 v9, 0x3e76c4e1, v15
	v_mul_f32_e32 v17, v14, v15
	v_sub_f32_e32 v11, v15, v11
	v_fmac_f32_e32 v10, v15, v9
	v_fma_f32 v9, v15, v14, -v17
	v_ldexp_f32 v16, v7, 1
	v_sub_f32_e32 v8, v8, v11
	v_fmac_f32_e32 v9, v15, v7
	v_mul_f32_e32 v7, v15, v10
	v_fmac_f32_e32 v9, v8, v14
	v_fma_f32 v11, v15, v10, -v7
	v_add_f32_e32 v15, v17, v9
	v_fmac_f32_e32 v11, v8, v10
	v_sub_f32_e32 v8, v15, v17
	v_add_f32_e32 v10, v7, v11
	v_sub_f32_e32 v8, v9, v8
	v_add_f32_e32 v9, 0x3f2aaaaa, v10
	v_sub_f32_e32 v7, v10, v7
	v_sub_f32_e32 v7, v11, v7
	v_add_f32_e32 v11, 0xbf2aaaaa, v9
	v_add_f32_e32 v7, 0x31739010, v7
	v_sub_f32_e32 v10, v10, v11
	v_add_f32_e32 v7, v7, v10
	v_add_f32_e32 v10, v9, v7
	v_sub_f32_e32 v9, v9, v10
	v_mul_f32_e32 v11, v15, v10
	v_add_f32_e32 v7, v7, v9
	v_fma_f32 v9, v15, v10, -v11
	v_fmac_f32_e32 v9, v15, v7
	v_fmac_f32_e32 v9, v8, v10
	v_add_f32_e32 v8, v12, v13
	v_sub_f32_e32 v10, v8, v12
	v_add_f32_e32 v12, v11, v9
	v_ldexp_f32 v7, v14, 1
	v_sub_f32_e32 v11, v12, v11
	v_sub_f32_e32 v9, v9, v11
	v_add_f32_e32 v11, v7, v12
	v_sub_f32_e32 v7, v11, v7
	v_sub_f32_e32 v7, v12, v7
	v_add_f32_e32 v9, v16, v9
	v_add_f32_e32 v7, v9, v7
	v_add_f32_e32 v9, v11, v7
	v_sub_f32_e32 v11, v9, v11
	v_sub_f32_e32 v7, v7, v11
	v_add_f32_e32 v11, v8, v9
	v_sub_f32_e32 v12, v11, v8
	v_sub_f32_e32 v10, v13, v10
	;; [unrolled: 1-line block ×5, first 2 shown]
	v_add_f32_e32 v8, v9, v8
	v_add_f32_e32 v9, v10, v7
	v_sub_f32_e32 v12, v9, v10
	v_sub_f32_e32 v13, v9, v12
	v_add_f32_e32 v8, v9, v8
	v_sub_f32_e32 v10, v10, v13
	v_sub_f32_e32 v7, v7, v12
	v_add_f32_e32 v9, v11, v8
	v_add_f32_e32 v7, v7, v10
	v_sub_f32_e32 v10, v9, v11
	v_sub_f32_e32 v8, v8, v10
	v_add_f32_e32 v7, v7, v8
	v_add_f32_e32 v8, v9, v7
	v_sub_f32_e32 v9, v8, v9
	v_sub_f32_e32 v7, v7, v9
	v_mul_f32_e32 v9, v2, v8
	v_fma_f32 v8, v2, v8, -v9
	v_fmac_f32_e32 v8, v2, v7
	s_movk_i32 s2, 0x204
	v_add_f32_e32 v7, v9, v8
	v_cmp_class_f32_e64 vcc, v9, s2
	v_sub_f32_e32 v10, v7, v9
	v_cndmask_b32_e32 v7, v7, v9, vcc
	s_mov_b32 s1, 0x42b17218
	v_mov_b32_e32 v9, 0x37000000
	v_cmp_eq_f32_e32 vcc, s1, v7
	v_cndmask_b32_e32 v9, 0, v9, vcc
	v_sub_f32_e32 v8, v8, v10
	v_sub_f32_e32 v10, v7, v9
	s_mov_b32 s3, 0x3fb8aa3b
	v_mul_f32_e32 v11, 0x3fb8aa3b, v10
	v_fma_f32 v12, v10, s3, -v11
	v_rndne_f32_e32 v13, v11
	v_fmac_f32_e32 v12, 0x32a5705f, v10
	v_sub_f32_e32 v11, v11, v13
	v_add_f32_e32 v11, v11, v12
	v_exp_f32_e32 v11, v11
	v_cvt_i32_f32_e32 v12, v13
	s_mov_b32 s0, 0x7f800000
	v_cmp_neq_f32_e64 vcc, |v7|, s0
	s_mov_b32 s0, 0xc2ce8ed0
	v_cndmask_b32_e32 v7, 0, v8, vcc
	v_ldexp_f32 v8, v11, v12
	v_cmp_ngt_f32_e32 vcc, s0, v10
	v_add_f32_e32 v7, v9, v7
	v_cndmask_b32_e32 v8, 0, v8, vcc
	v_mov_b32_e32 v9, 0x7f800000
	v_cmp_nlt_f32_e32 vcc, s1, v10
	v_cndmask_b32_e32 v8, v9, v8, vcc
	v_fma_f32 v7, v8, v7, v8
	v_cmp_class_f32_e64 vcc, v8, s2
	v_cndmask_b32_e32 v7, v7, v8, vcc
	v_trunc_f32_e32 v8, v2
	v_cmp_eq_f32_e32 vcc, v8, v2
	v_mul_f32_e32 v8, 0.5, v2
	v_trunc_f32_e32 v11, v8
	v_cmp_neq_f32_e64 s[0:1], v11, v8
	s_and_b64 s[0:1], vcc, s[0:1]
	v_cndmask_b32_e64 v8, 1.0, v1, s[0:1]
	s_brev_b32 s7, -2
	v_mov_b32_e32 v10, 0x7fc00000
	v_bfi_b32 v7, s7, v7, v8
	v_cndmask_b32_e32 v8, v10, v7, vcc
	v_cmp_gt_f32_e32 vcc, 0, v1
	v_cndmask_b32_e32 v7, v7, v8, vcc
	v_cmp_class_f32_e64 s[24:25], v1, s2
	v_cmp_eq_f32_e32 vcc, 0, v1
	v_cmp_gt_f32_e64 s[2:3], 0, v2
	s_xor_b64 s[2:3], s[2:3], vcc
	s_waitcnt vmcnt(0)
	v_cvt_f32_i32_e32 v6, v6
	v_cndmask_b32_e64 v2, v9, 0, s[2:3]
	v_cndmask_b32_e64 v8, 0, v1, s[0:1]
	v_bfi_b32 v2, s7, v2, v8
	s_or_b64 vcc, vcc, s[24:25]
	v_cndmask_b32_e32 v2, v7, v2, vcc
	v_cmp_o_f32_e32 vcc, v1, v1
	v_cndmask_b32_e32 v1, v10, v2, vcc
	v_mul_f32_e32 v6, v1, v6
.LBB31_8:
	s_or_b64 exec, exec, s[22:23]
	s_load_dwordx2 s[0:1], s[4:5], 0x58
	v_ashrrev_i32_e32 v1, 31, v0
	v_lshlrev_b64 v[1:2], 2, v[0:1]
	s_waitcnt lgkmcnt(0)
	v_mov_b32_e32 v7, s1
	v_add_co_u32_e32 v1, vcc, s0, v1
	v_addc_co_u32_e32 v2, vcc, v7, v2, vcc
	global_load_dword v1, v[1:2], off
	s_waitcnt vmcnt(0)
	v_div_scale_f32 v2, s[0:1], v1, v1, v6
	v_div_scale_f32 v7, vcc, v6, v1, v6
	v_cmp_eq_f32_e64 s[0:1], s17, 0
	v_rcp_f32_e32 v8, v2
	v_fma_f32 v9, -v2, v8, 1.0
	v_fmac_f32_e32 v8, v9, v8
	v_mul_f32_e32 v9, v7, v8
	v_fma_f32 v10, -v2, v9, v7
	v_fmac_f32_e32 v9, v10, v8
	v_fma_f32 v2, -v2, v9, v7
	v_div_fmas_f32 v7, v2, v8, v9
	s_and_b64 vcc, exec, s[0:1]
	v_div_fixup_f32 v6, v7, v1, v6
	v_mul_f32_e32 v1, s16, v6
	s_cbranch_vccnz .LBB31_10
; %bb.9:
	v_cvt_f32_i32_e32 v2, v0
	v_div_scale_f32 v8, s[0:1], s16, s16, 1.0
	v_mov_b32_e32 v7, s19
	v_sub_f32_e32 v7, s6, v7
	v_subrev_f32_e32 v2, s19, v2
	v_max_f32_e32 v7, 0x3a83126f, v7
	v_div_scale_f32 v9, s[0:1], v7, v7, v2
	v_div_scale_f32 v10, s[0:1], 1.0, s16, 1.0
	v_div_scale_f32 v11, vcc, v2, v7, v2
	s_mov_b32 s2, 0x3f317217
	s_mov_b32 s3, 0x7f800000
	v_rcp_f32_e32 v12, v8
	v_fma_f32 v13, -v8, v12, 1.0
	v_fmac_f32_e32 v12, v13, v12
	v_rcp_f32_e32 v14, v9
	v_mul_f32_e32 v13, v10, v12
	v_fma_f32 v15, -v8, v13, v10
	v_fmac_f32_e32 v13, v15, v12
	v_fma_f32 v15, -v9, v14, 1.0
	v_fmac_f32_e32 v14, v15, v14
	v_fma_f32 v8, -v8, v13, v10
	v_mul_f32_e32 v10, v11, v14
	v_fma_f32 v15, -v9, v10, v11
	v_fmac_f32_e32 v10, v15, v14
	v_fma_f32 v9, -v9, v10, v11
	v_div_fmas_f32 v9, v9, v14, v10
	s_mov_b64 vcc, s[0:1]
	v_div_fmas_f32 v8, v8, v12, v13
	s_mov_b32 s0, 0x800000
	v_mov_b32_e32 v10, 0x41b17218
	v_div_fixup_f32 v2, v9, v7, v2 clamp
	v_sub_f32_e32 v2, 1.0, v2
	v_div_fixup_f32 v7, v8, s16, 1.0
	v_cmp_gt_f32_e32 vcc, s0, v7
	s_and_b64 s[0:1], vcc, exec
	s_cselect_b32 s0, 32, 0
	v_ldexp_f32 v7, v7, s0
	v_log_f32_e32 v7, v7
	v_mul_f32_e32 v8, s17, v2
	v_fma_f32 v2, -s17, v2, 1.0
	v_mul_f32_e32 v1, v2, v1
	v_mul_f32_e32 v2, 0x3f317217, v7
	v_fma_f32 v2, v7, s2, -v2
	v_fmac_f32_e32 v2, 0x3377d1cf, v7
	v_cndmask_b32_e32 v9, 0, v10, vcc
	v_fmac_f32_e32 v2, 0x3f317217, v7
	v_cmp_lt_f32_e64 vcc, |v7|, s3
	v_cndmask_b32_e32 v2, v7, v2, vcc
	v_sub_f32_e32 v2, v2, v9
	s_mov_b32 s0, 0x3dcccccd
	v_fma_f32 v2, v2, s0, 1.0
	v_fmac_f32_e32 v1, v8, v6
	v_mul_f32_e32 v2, s18, v2
	s_branch .LBB31_11
.LBB31_10:
	v_mov_b32_e32 v2, s18
.LBB31_11:
	v_and_b32_e32 v6, 0x7fffffff, v1
	s_brev_b32 s0, 18
	v_cmp_nlt_f32_e64 s[16:17], |v1|, s0
	v_lshrrev_b32_e32 v9, 23, v6
                                        ; implicit-def: $vgpr8
                                        ; implicit-def: $vgpr7
	s_and_saveexec_b64 s[0:1], s[16:17]
	s_xor_b64 s[18:19], exec, s[0:1]
	s_cbranch_execz .LBB31_13
; %bb.12:
	v_and_b32_e32 v7, 0x7fffff, v6
	v_or_b32_e32 v18, 0x800000, v7
	s_mov_b32 s0, 0xfe5163ab
	v_mad_u64_u32 v[7:8], s[0:1], v18, s0, 0
	v_mov_b32_e32 v11, 0
	s_mov_b32 s0, 0x3c439041
	v_mov_b32_e32 v10, v8
	v_mad_u64_u32 v[12:13], s[0:1], v18, s0, v[10:11]
	s_mov_b32 s0, 0xdb629599
	v_add_u32_e32 v8, 0xffffff88, v9
	v_mov_b32_e32 v10, v13
	v_mad_u64_u32 v[13:14], s[0:1], v18, s0, v[10:11]
	s_mov_b32 s0, 0xf534ddc0
	v_not_b32_e32 v17, 63
	v_mov_b32_e32 v10, v14
	v_mad_u64_u32 v[14:15], s[0:1], v18, s0, v[10:11]
	s_mov_b32 s0, 0xfc2757d1
	v_cmp_lt_u32_e32 vcc, 63, v8
	v_mov_b32_e32 v10, v15
	v_mad_u64_u32 v[15:16], s[0:1], v18, s0, v[10:11]
	v_cndmask_b32_e32 v10, 0, v17, vcc
	v_add_u32_e32 v8, v10, v8
	v_mov_b32_e32 v10, v16
	s_mov_b32 s0, 0x4e441529
	v_mad_u64_u32 v[16:17], s[0:1], v18, s0, v[10:11]
	v_not_b32_e32 v19, 31
	v_cmp_lt_u32_e64 s[0:1], 31, v8
	v_cndmask_b32_e64 v10, 0, v19, s[0:1]
	v_add_u32_e32 v8, v10, v8
	v_mov_b32_e32 v10, v17
	s_mov_b32 s2, 0xa2f9836e
	v_mad_u64_u32 v[10:11], s[2:3], v18, s2, v[10:11]
	v_cmp_lt_u32_e64 s[2:3], 31, v8
	v_cndmask_b32_e64 v17, 0, v19, s[2:3]
	v_add_u32_e32 v8, v17, v8
	v_cndmask_b32_e32 v17, v16, v14, vcc
	v_cndmask_b32_e32 v10, v10, v15, vcc
	;; [unrolled: 1-line block ×3, first 2 shown]
	v_cndmask_b32_e64 v18, v10, v17, s[0:1]
	v_cndmask_b32_e64 v10, v11, v10, s[0:1]
	v_cndmask_b32_e32 v11, v15, v13, vcc
	v_cndmask_b32_e64 v15, v17, v11, s[0:1]
	v_cndmask_b32_e64 v10, v10, v18, s[2:3]
	v_cndmask_b32_e64 v16, v18, v15, s[2:3]
	v_sub_u32_e32 v17, 32, v8
	v_alignbit_b32 v18, v10, v16, v17
	v_cmp_eq_u32_e64 s[6:7], 0, v8
	v_cndmask_b32_e64 v8, v18, v10, s[6:7]
	v_cndmask_b32_e32 v10, v14, v12, vcc
	v_cndmask_b32_e64 v11, v11, v10, s[0:1]
	v_cndmask_b32_e64 v12, v15, v11, s[2:3]
	v_alignbit_b32 v14, v16, v12, v17
	v_cndmask_b32_e32 v7, v13, v7, vcc
	v_cndmask_b32_e64 v14, v14, v16, s[6:7]
	v_bfe_u32 v18, v8, 29, 1
	v_cndmask_b32_e64 v7, v10, v7, s[0:1]
	v_alignbit_b32 v15, v8, v14, 30
	v_sub_u32_e32 v19, 0, v18
	v_cndmask_b32_e64 v7, v11, v7, s[2:3]
	v_xor_b32_e32 v15, v15, v19
	v_alignbit_b32 v10, v12, v7, v17
	v_cndmask_b32_e64 v10, v10, v12, s[6:7]
	v_ffbh_u32_e32 v12, v15
	v_alignbit_b32 v11, v14, v10, 30
	v_min_u32_e32 v12, 32, v12
	v_alignbit_b32 v7, v10, v7, 30
	v_xor_b32_e32 v11, v11, v19
	v_sub_u32_e32 v13, 31, v12
	v_xor_b32_e32 v7, v7, v19
	v_alignbit_b32 v14, v15, v11, v13
	v_alignbit_b32 v7, v11, v7, v13
	;; [unrolled: 1-line block ×3, first 2 shown]
	v_ffbh_u32_e32 v11, v10
	v_min_u32_e32 v11, 32, v11
	v_lshrrev_b32_e32 v16, 29, v8
	v_not_b32_e32 v13, v11
	v_alignbit_b32 v7, v10, v7, v13
	v_lshlrev_b32_e32 v10, 31, v16
	v_or_b32_e32 v13, 0x33000000, v10
	v_add_lshl_u32 v11, v11, v12, 23
	v_lshrrev_b32_e32 v7, 9, v7
	v_sub_u32_e32 v11, v13, v11
	v_or_b32_e32 v10, 0.5, v10
	v_lshlrev_b32_e32 v12, 23, v12
	v_or_b32_e32 v7, v11, v7
	v_lshrrev_b32_e32 v11, 9, v14
	v_sub_u32_e32 v10, v10, v12
	v_or_b32_e32 v10, v11, v10
	s_mov_b32 s0, 0x3fc90fda
	v_mul_f32_e32 v11, 0x3fc90fda, v10
	v_fma_f32 v12, v10, s0, -v11
	v_fmac_f32_e32 v12, 0x33a22168, v10
	v_fmac_f32_e32 v12, 0x3fc90fda, v7
	v_lshrrev_b32_e32 v8, 30, v8
	v_add_f32_e32 v7, v11, v12
	v_add_u32_e32 v8, v18, v8
	s_andn2_saveexec_b64 s[0:1], s[18:19]
	s_cbranch_execz .LBB31_15
	s_branch .LBB31_14
.LBB31_13:
	s_andn2_saveexec_b64 s[0:1], s[18:19]
	s_cbranch_execz .LBB31_15
.LBB31_14:
	s_mov_b32 s2, 0x3f22f983
	v_mul_f32_e64 v7, |v1|, s2
	v_rndne_f32_e32 v10, v7
	s_mov_b32 s2, 0xbfc90fda
	v_cvt_i32_f32_e32 v8, v10
	v_fma_f32 v7, v10, s2, |v1|
	v_fmac_f32_e32 v7, 0xb3a22168, v10
	v_fmac_f32_e32 v7, 0xa7c234c4, v10
.LBB31_15:
	s_or_b64 exec, exec, s[0:1]
                                        ; implicit-def: $vgpr11
                                        ; implicit-def: $vgpr10
	s_and_saveexec_b64 s[0:1], s[16:17]
	s_xor_b64 s[16:17], exec, s[0:1]
	s_cbranch_execz .LBB31_17
; %bb.16:
	v_and_b32_e32 v10, 0x7fffff, v6
	v_or_b32_e32 v19, 0x800000, v10
	s_mov_b32 s0, 0xfe5163ab
	v_mad_u64_u32 v[10:11], s[0:1], v19, s0, 0
	v_mov_b32_e32 v12, 0
	s_mov_b32 s0, 0x3c439041
	v_mad_u64_u32 v[13:14], s[0:1], v19, s0, v[11:12]
	s_mov_b32 s0, 0xdb629599
	v_add_u32_e32 v9, 0xffffff88, v9
	v_mov_b32_e32 v11, v14
	v_mad_u64_u32 v[14:15], s[0:1], v19, s0, v[11:12]
	s_mov_b32 s0, 0xf534ddc0
	v_not_b32_e32 v18, 63
	v_mov_b32_e32 v11, v15
	v_mad_u64_u32 v[15:16], s[0:1], v19, s0, v[11:12]
	s_mov_b32 s0, 0xfc2757d1
	v_cmp_lt_u32_e32 vcc, 63, v9
	v_mov_b32_e32 v11, v16
	v_mad_u64_u32 v[16:17], s[0:1], v19, s0, v[11:12]
	v_cndmask_b32_e32 v11, 0, v18, vcc
	v_add_u32_e32 v9, v11, v9
	v_mov_b32_e32 v11, v17
	s_mov_b32 s0, 0x4e441529
	v_mad_u64_u32 v[17:18], s[0:1], v19, s0, v[11:12]
	v_not_b32_e32 v20, 31
	v_cmp_lt_u32_e64 s[0:1], 31, v9
	v_cndmask_b32_e64 v11, 0, v20, s[0:1]
	v_add_u32_e32 v9, v11, v9
	v_mov_b32_e32 v11, v18
	s_mov_b32 s2, 0xa2f9836e
	v_mad_u64_u32 v[11:12], s[2:3], v19, s2, v[11:12]
	v_cmp_lt_u32_e64 s[2:3], 31, v9
	v_cndmask_b32_e64 v18, 0, v20, s[2:3]
	v_add_u32_e32 v9, v18, v9
	v_cndmask_b32_e32 v18, v17, v15, vcc
	v_cndmask_b32_e32 v11, v11, v16, vcc
	;; [unrolled: 1-line block ×3, first 2 shown]
	v_cndmask_b32_e64 v19, v11, v18, s[0:1]
	v_cndmask_b32_e64 v11, v12, v11, s[0:1]
	v_cndmask_b32_e32 v12, v16, v14, vcc
	v_cndmask_b32_e64 v16, v18, v12, s[0:1]
	v_cndmask_b32_e64 v11, v11, v19, s[2:3]
	;; [unrolled: 1-line block ×3, first 2 shown]
	v_sub_u32_e32 v18, 32, v9
	v_alignbit_b32 v19, v11, v17, v18
	v_cmp_eq_u32_e64 s[6:7], 0, v9
	v_cndmask_b32_e64 v9, v19, v11, s[6:7]
	v_cndmask_b32_e32 v11, v15, v13, vcc
	v_cndmask_b32_e64 v12, v12, v11, s[0:1]
	v_cndmask_b32_e64 v13, v16, v12, s[2:3]
	v_alignbit_b32 v15, v17, v13, v18
	v_cndmask_b32_e32 v10, v14, v10, vcc
	v_cndmask_b32_e64 v15, v15, v17, s[6:7]
	v_bfe_u32 v19, v9, 29, 1
	v_cndmask_b32_e64 v10, v11, v10, s[0:1]
	v_alignbit_b32 v16, v9, v15, 30
	v_sub_u32_e32 v20, 0, v19
	v_cndmask_b32_e64 v10, v12, v10, s[2:3]
	v_xor_b32_e32 v16, v16, v20
	v_alignbit_b32 v11, v13, v10, v18
	v_cndmask_b32_e64 v11, v11, v13, s[6:7]
	v_ffbh_u32_e32 v13, v16
	v_alignbit_b32 v12, v15, v11, 30
	v_min_u32_e32 v13, 32, v13
	v_alignbit_b32 v10, v11, v10, 30
	v_xor_b32_e32 v12, v12, v20
	v_sub_u32_e32 v14, 31, v13
	v_xor_b32_e32 v10, v10, v20
	v_alignbit_b32 v15, v16, v12, v14
	v_alignbit_b32 v10, v12, v10, v14
	;; [unrolled: 1-line block ×3, first 2 shown]
	v_ffbh_u32_e32 v12, v11
	v_min_u32_e32 v12, 32, v12
	v_lshrrev_b32_e32 v17, 29, v9
	v_not_b32_e32 v14, v12
	v_alignbit_b32 v10, v11, v10, v14
	v_lshlrev_b32_e32 v11, 31, v17
	v_or_b32_e32 v14, 0x33000000, v11
	v_add_lshl_u32 v12, v12, v13, 23
	v_lshrrev_b32_e32 v10, 9, v10
	v_sub_u32_e32 v12, v14, v12
	v_or_b32_e32 v11, 0.5, v11
	v_lshlrev_b32_e32 v13, 23, v13
	v_or_b32_e32 v10, v12, v10
	v_lshrrev_b32_e32 v12, 9, v15
	v_sub_u32_e32 v11, v11, v13
	v_or_b32_e32 v11, v12, v11
	s_mov_b32 s0, 0x3fc90fda
	v_mul_f32_e32 v12, 0x3fc90fda, v11
	v_fma_f32 v13, v11, s0, -v12
	v_fmac_f32_e32 v13, 0x33a22168, v11
	v_fmac_f32_e32 v13, 0x3fc90fda, v10
	v_lshrrev_b32_e32 v9, 30, v9
	v_add_f32_e32 v10, v12, v13
	v_add_u32_e32 v11, v19, v9
	s_andn2_saveexec_b64 s[0:1], s[16:17]
	s_cbranch_execnz .LBB31_18
	s_branch .LBB31_19
.LBB31_17:
	s_andn2_saveexec_b64 s[0:1], s[16:17]
	s_cbranch_execz .LBB31_19
.LBB31_18:
	s_mov_b32 s2, 0x3f22f983
	v_mul_f32_e64 v9, |v1|, s2
	v_rndne_f32_e32 v9, v9
	s_mov_b32 s2, 0xbfc90fda
	v_cvt_i32_f32_e32 v11, v9
	v_fma_f32 v10, v9, s2, |v1|
	v_fmac_f32_e32 v10, 0xb3a22168, v9
	v_fmac_f32_e32 v10, 0xa7c234c4, v9
.LBB31_19:
	s_or_b64 exec, exec, s[0:1]
	v_mul_lo_u32 v9, v4, s9
	v_mul_lo_u32 v14, v4, s12
	s_load_dwordx4 s[0:3], s[4:5], 0x0
	v_mad_u64_u32 v[12:13], s[4:5], v3, s13, v[0:1]
	v_sub_u32_e32 v5, v5, v9
	v_mul_lo_u32 v9, v5, s11
	s_waitcnt lgkmcnt(0)
	v_mov_b32_e32 v15, s1
	s_ashr_i32 s1, s21, 31
	v_mov_b32_e32 v18, 0x3c0881c4
	v_add3_u32 v12, v12, v14, v9
	v_ashrrev_i32_e32 v13, 31, v12
	v_lshlrev_b64 v[12:13], 2, v[12:13]
	v_mov_b32_e32 v19, 0xbe2aaa9d
	v_add_co_u32_e32 v12, vcc, s0, v12
	s_mov_b32 s0, s21
	v_addc_co_u32_e32 v13, vcc, v15, v13, vcc
	s_lshl_b64 s[0:1], s[0:1], 2
	v_mov_b32_e32 v9, s1
	v_add_co_u32_e32 v14, vcc, s0, v12
	v_addc_co_u32_e32 v15, vcc, v13, v9, vcc
	global_load_dword v16, v[12:13], off
	global_load_dword v17, v[14:15], off
	v_mul_f32_e32 v14, v7, v7
	v_mov_b32_e32 v15, 0x3c0881c4
	v_mad_u64_u32 v[12:13], s[4:5], v3, s20, v[0:1]
	v_mul_f32_e32 v0, v10, v10
	v_fmac_f32_e32 v18, 0xb94c1982, v14
	v_fmac_f32_e32 v15, 0xb94c1982, v0
	v_fma_f32 v3, v14, v18, v19
	v_mov_b32_e32 v13, 0xbab64f3b
	v_lshlrev_b32_e32 v18, 30, v11
	v_mov_b32_e32 v20, 0xbab64f3b
	v_fmac_f32_e32 v19, v0, v15
	v_fmac_f32_e32 v13, 0x37d75334, v14
	v_mov_b32_e32 v15, 0x3d2aabf7
	v_xor_b32_e32 v6, v6, v1
	v_and_b32_e32 v18, 0x80000000, v18
	v_fmac_f32_e32 v20, 0x37d75334, v0
	v_fma_f32 v13, v14, v13, v15
	v_xor_b32_e32 v6, v6, v18
	v_mov_b32_e32 v18, 0xbf000004
	v_mul_f32_e32 v3, v14, v3
	v_fmac_f32_e32 v15, v0, v20
	v_fma_f32 v13, v14, v13, v18
	v_fmac_f32_e32 v7, v7, v3
	v_and_b32_e32 v3, 1, v8
	v_fmac_f32_e32 v18, v0, v15
	v_fma_f32 v13, v14, v13, 1.0
	v_and_b32_e32 v11, 1, v11
	v_mul_f32_e32 v15, v0, v19
	v_cmp_eq_u32_e32 vcc, 0, v3
	v_mul_lo_u32 v4, v4, s15
	v_fmac_f32_e32 v10, v10, v15
	v_fma_f32 v0, v0, v18, 1.0
	v_cndmask_b32_e64 v3, -v7, v13, vcc
	v_mul_lo_u32 v5, v5, s14
	v_cmp_eq_u32_e32 vcc, 0, v11
	v_lshlrev_b32_e32 v8, 30, v8
	s_movk_i32 s1, 0x1f8
	v_cndmask_b32_e32 v0, v0, v10, vcc
	v_mov_b32_e32 v14, 0x7fc00000
	v_and_b32_e32 v8, 0x80000000, v8
	v_xor_b32_e32 v0, v6, v0
	v_cmp_class_f32_e64 vcc, v1, s1
	v_xor_b32_e32 v3, v8, v3
	v_cndmask_b32_e32 v0, v14, v0, vcc
	v_cndmask_b32_e32 v1, v14, v3, vcc
	v_mul_f32_e64 v8, v0, -v2
	v_add3_u32 v0, v12, v4, v5
	v_mul_f32_e32 v6, v2, v1
	v_ashrrev_i32_e32 v1, 31, v0
	v_lshlrev_b64 v[0:1], 2, v[0:1]
	v_mov_b32_e32 v7, s3
	v_add_co_u32_e32 v0, vcc, s2, v0
	v_addc_co_u32_e32 v1, vcc, v7, v1, vcc
	v_add_co_u32_e32 v2, vcc, s0, v0
	v_addc_co_u32_e32 v3, vcc, v1, v9, vcc
	s_waitcnt vmcnt(1)
	v_mul_f32_e32 v4, v16, v8
	s_waitcnt vmcnt(0)
	v_mul_f32_e32 v5, v17, v8
	v_fma_f32 v5, v6, v16, -v5
	v_fmac_f32_e32 v4, v6, v17
	global_store_dword v[0:1], v5, off
	global_store_dword v[2:3], v4, off
.LBB31_20:
	s_endpgm
	.section	.rodata,"a",@progbits
	.p2align	6, 0x0
	.amdhsa_kernel _ZL11rope_visionILb0ELb1EfEvPKT1_PS0_iiiiiiiiiiPKifff14rope_corr_dimsfPKf14mrope_sections
		.amdhsa_group_segment_fixed_size 0
		.amdhsa_private_segment_fixed_size 0
		.amdhsa_kernarg_size 368
		.amdhsa_user_sgpr_count 6
		.amdhsa_user_sgpr_private_segment_buffer 1
		.amdhsa_user_sgpr_dispatch_ptr 0
		.amdhsa_user_sgpr_queue_ptr 0
		.amdhsa_user_sgpr_kernarg_segment_ptr 1
		.amdhsa_user_sgpr_dispatch_id 0
		.amdhsa_user_sgpr_flat_scratch_init 0
		.amdhsa_user_sgpr_private_segment_size 0
		.amdhsa_uses_dynamic_stack 0
		.amdhsa_system_sgpr_private_segment_wavefront_offset 0
		.amdhsa_system_sgpr_workgroup_id_x 1
		.amdhsa_system_sgpr_workgroup_id_y 1
		.amdhsa_system_sgpr_workgroup_id_z 0
		.amdhsa_system_sgpr_workgroup_info 0
		.amdhsa_system_vgpr_workitem_id 1
		.amdhsa_next_free_vgpr 21
		.amdhsa_next_free_sgpr 26
		.amdhsa_reserve_vcc 1
		.amdhsa_reserve_flat_scratch 0
		.amdhsa_float_round_mode_32 0
		.amdhsa_float_round_mode_16_64 0
		.amdhsa_float_denorm_mode_32 3
		.amdhsa_float_denorm_mode_16_64 3
		.amdhsa_dx10_clamp 1
		.amdhsa_ieee_mode 1
		.amdhsa_fp16_overflow 0
		.amdhsa_exception_fp_ieee_invalid_op 0
		.amdhsa_exception_fp_denorm_src 0
		.amdhsa_exception_fp_ieee_div_zero 0
		.amdhsa_exception_fp_ieee_overflow 0
		.amdhsa_exception_fp_ieee_underflow 0
		.amdhsa_exception_fp_ieee_inexact 0
		.amdhsa_exception_int_div_zero 0
	.end_amdhsa_kernel
	.section	.text._ZL11rope_visionILb0ELb1EfEvPKT1_PS0_iiiiiiiiiiPKifff14rope_corr_dimsfPKf14mrope_sections,"axG",@progbits,_ZL11rope_visionILb0ELb1EfEvPKT1_PS0_iiiiiiiiiiPKifff14rope_corr_dimsfPKf14mrope_sections,comdat
.Lfunc_end31:
	.size	_ZL11rope_visionILb0ELb1EfEvPKT1_PS0_iiiiiiiiiiPKifff14rope_corr_dimsfPKf14mrope_sections, .Lfunc_end31-_ZL11rope_visionILb0ELb1EfEvPKT1_PS0_iiiiiiiiiiPKifff14rope_corr_dimsfPKf14mrope_sections
                                        ; -- End function
	.set _ZL11rope_visionILb0ELb1EfEvPKT1_PS0_iiiiiiiiiiPKifff14rope_corr_dimsfPKf14mrope_sections.num_vgpr, 21
	.set _ZL11rope_visionILb0ELb1EfEvPKT1_PS0_iiiiiiiiiiPKifff14rope_corr_dimsfPKf14mrope_sections.num_agpr, 0
	.set _ZL11rope_visionILb0ELb1EfEvPKT1_PS0_iiiiiiiiiiPKifff14rope_corr_dimsfPKf14mrope_sections.numbered_sgpr, 26
	.set _ZL11rope_visionILb0ELb1EfEvPKT1_PS0_iiiiiiiiiiPKifff14rope_corr_dimsfPKf14mrope_sections.num_named_barrier, 0
	.set _ZL11rope_visionILb0ELb1EfEvPKT1_PS0_iiiiiiiiiiPKifff14rope_corr_dimsfPKf14mrope_sections.private_seg_size, 0
	.set _ZL11rope_visionILb0ELb1EfEvPKT1_PS0_iiiiiiiiiiPKifff14rope_corr_dimsfPKf14mrope_sections.uses_vcc, 1
	.set _ZL11rope_visionILb0ELb1EfEvPKT1_PS0_iiiiiiiiiiPKifff14rope_corr_dimsfPKf14mrope_sections.uses_flat_scratch, 0
	.set _ZL11rope_visionILb0ELb1EfEvPKT1_PS0_iiiiiiiiiiPKifff14rope_corr_dimsfPKf14mrope_sections.has_dyn_sized_stack, 0
	.set _ZL11rope_visionILb0ELb1EfEvPKT1_PS0_iiiiiiiiiiPKifff14rope_corr_dimsfPKf14mrope_sections.has_recursion, 0
	.set _ZL11rope_visionILb0ELb1EfEvPKT1_PS0_iiiiiiiiiiPKifff14rope_corr_dimsfPKf14mrope_sections.has_indirect_call, 0
	.section	.AMDGPU.csdata,"",@progbits
; Kernel info:
; codeLenInByte = 3844
; TotalNumSgprs: 30
; NumVgprs: 21
; ScratchSize: 0
; MemoryBound: 0
; FloatMode: 240
; IeeeMode: 1
; LDSByteSize: 0 bytes/workgroup (compile time only)
; SGPRBlocks: 3
; VGPRBlocks: 5
; NumSGPRsForWavesPerEU: 30
; NumVGPRsForWavesPerEU: 21
; Occupancy: 10
; WaveLimiterHint : 0
; COMPUTE_PGM_RSRC2:SCRATCH_EN: 0
; COMPUTE_PGM_RSRC2:USER_SGPR: 6
; COMPUTE_PGM_RSRC2:TRAP_HANDLER: 0
; COMPUTE_PGM_RSRC2:TGID_X_EN: 1
; COMPUTE_PGM_RSRC2:TGID_Y_EN: 1
; COMPUTE_PGM_RSRC2:TGID_Z_EN: 0
; COMPUTE_PGM_RSRC2:TIDIG_COMP_CNT: 1
	.section	.text._ZL11rope_visionILb0ELb0E6__halfEvPKT1_PS1_iiiiiiiiiiPKifff14rope_corr_dimsfPKf14mrope_sections,"axG",@progbits,_ZL11rope_visionILb0ELb0E6__halfEvPKT1_PS1_iiiiiiiiiiPKifff14rope_corr_dimsfPKf14mrope_sections,comdat
	.globl	_ZL11rope_visionILb0ELb0E6__halfEvPKT1_PS1_iiiiiiiiiiPKifff14rope_corr_dimsfPKf14mrope_sections ; -- Begin function _ZL11rope_visionILb0ELb0E6__halfEvPKT1_PS1_iiiiiiiiiiPKifff14rope_corr_dimsfPKf14mrope_sections
	.p2align	8
	.type	_ZL11rope_visionILb0ELb0E6__halfEvPKT1_PS1_iiiiiiiiiiPKifff14rope_corr_dimsfPKf14mrope_sections,@function
_ZL11rope_visionILb0ELb0E6__halfEvPKT1_PS1_iiiiiiiiiiPKifff14rope_corr_dimsfPKf14mrope_sections: ; @_ZL11rope_visionILb0ELb0E6__halfEvPKT1_PS1_iiiiiiiiiiPKifff14rope_corr_dimsfPKf14mrope_sections
; %bb.0:
	s_load_dword s0, s[4:5], 0x7c
	s_load_dwordx8 s[8:15], s[4:5], 0x10
	s_add_u32 s2, s4, 0x70
	s_addc_u32 s3, s5, 0
	s_waitcnt lgkmcnt(0)
	s_lshr_b32 s0, s0, 16
	s_mul_i32 s7, s7, s0
	v_add_lshl_u32 v1, s7, v1, 1
	v_cmp_gt_i32_e32 vcc, s8, v1
	s_and_saveexec_b64 s[0:1], vcc
	s_cbranch_execz .LBB32_20
; %bb.1:
	s_mul_i32 s7, s10, s9
	s_abs_i32 s8, s7
	v_cvt_f32_u32_e32 v2, s8
	s_load_dwordx2 s[0:1], s[4:5], 0x60
	s_load_dword s16, s[2:3], 0xc
	s_sub_i32 s3, 0, s8
	v_cvt_f32_u32_e32 v3, s9
	v_rcp_iflag_f32_e32 v2, v2
	s_sub_i32 s2, 0, s9
	s_waitcnt lgkmcnt(0)
	s_add_i32 s1, s1, s0
	v_rcp_iflag_f32_e32 v3, v3
	v_mul_f32_e32 v2, 0x4f7ffffe, v2
	v_cvt_u32_f32_e32 v2, v2
	s_mov_b64 s[24:25], -1
	v_mul_f32_e32 v3, 0x4f7ffffe, v3
	v_mul_lo_u32 v4, s3, v2
	s_and_b32 s3, s16, 0xffff
	s_mul_i32 s6, s6, s3
	v_add_u32_e32 v0, s6, v0
	v_mul_hi_u32 v4, v2, v4
	v_sub_u32_e32 v5, 0, v0
	v_max_i32_e32 v5, v0, v5
	s_load_dwordx2 s[20:21], s[4:5], 0x30
	s_load_dwordx4 s[16:19], s[4:5], 0x40
	v_add_u32_e32 v2, v2, v4
	v_mul_hi_u32 v2, v5, v2
	v_cvt_u32_f32_e32 v4, v3
	v_xor_b32_e32 v3, s7, v0
	v_ashrrev_i32_e32 v3, 31, v3
	v_mul_lo_u32 v6, v2, s8
	v_add_u32_e32 v8, 1, v2
	v_mul_lo_u32 v7, s2, v4
	s_abs_i32 s2, s1
	v_sub_u32_e32 v5, v5, v6
	v_cmp_le_u32_e32 vcc, s8, v5
	v_subrev_u32_e32 v6, s8, v5
	v_cndmask_b32_e32 v2, v2, v8, vcc
	v_cndmask_b32_e32 v5, v5, v6, vcc
	v_add_u32_e32 v6, 1, v2
	v_cmp_le_u32_e32 vcc, s8, v5
	v_cndmask_b32_e32 v2, v2, v6, vcc
	v_xor_b32_e32 v2, v2, v3
	v_sub_u32_e32 v3, v2, v3
	v_mul_lo_u32 v2, s7, v3
	v_mul_hi_u32 v6, v4, v7
	v_cvt_f32_u32_e32 v7, s2
	s_sub_i32 s3, 0, s2
	v_sub_u32_e32 v5, v0, v2
	v_add_u32_e32 v0, v4, v6
	v_rcp_iflag_f32_e32 v2, v7
	v_mul_hi_u32 v0, v5, v0
	s_load_dwordx2 s[6:7], s[4:5], 0x50
	v_mul_f32_e32 v2, 0x4f7ffffe, v2
	v_cvt_u32_f32_e32 v2, v2
	v_mul_lo_u32 v4, v0, s9
	v_add_u32_e32 v7, 1, v0
	v_mul_lo_u32 v6, s3, v2
	v_sub_u32_e32 v4, v5, v4
	v_cmp_le_u32_e32 vcc, s9, v4
	v_cndmask_b32_e32 v7, v0, v7, vcc
	v_mul_hi_u32 v6, v2, v6
	v_ashrrev_i32_e32 v0, 1, v1
	v_sub_u32_e32 v8, 0, v0
	v_max_i32_e32 v8, v0, v8
	v_add_u32_e32 v2, v2, v6
	v_mul_hi_u32 v2, v8, v2
	v_subrev_u32_e32 v6, s9, v4
	v_cndmask_b32_e32 v4, v4, v6, vcc
	v_add_u32_e32 v6, 1, v7
	v_mul_lo_u32 v2, v2, s2
	v_cmp_le_u32_e32 vcc, s9, v4
	v_cndmask_b32_e32 v4, v7, v6, vcc
	v_ashrrev_i32_e32 v1, 31, v1
	v_sub_u32_e32 v2, v8, v2
	v_subrev_u32_e32 v6, s2, v2
	v_cmp_le_u32_e32 vcc, s2, v2
	v_cndmask_b32_e32 v2, v2, v6, vcc
	v_subrev_u32_e32 v6, s2, v2
	v_cmp_le_u32_e32 vcc, s2, v2
	v_cndmask_b32_e32 v2, v2, v6, vcc
	v_xor_b32_e32 v2, v2, v1
	v_sub_u32_e32 v7, v2, v1
	v_cmp_le_i32_e32 vcc, s0, v7
	v_mov_b32_e32 v1, v4
	s_and_saveexec_b64 s[2:3], vcc
	s_cbranch_execz .LBB32_6
; %bb.2:
	s_cmp_gt_i32 s1, -1
	s_cbranch_scc0 .LBB32_4
; %bb.3:
	v_subrev_u32_e32 v7, s0, v7
	v_add_u32_e32 v1, s10, v4
	s_mov_b64 s[0:1], -1
	s_branch .LBB32_5
.LBB32_4:
	s_mov_b64 s[0:1], 0
                                        ; implicit-def: $vgpr7
                                        ; implicit-def: $vgpr1
.LBB32_5:
	s_orn2_b64 s[24:25], s[0:1], exec
.LBB32_6:
	s_or_b64 exec, exec, s[2:3]
	v_mov_b32_e32 v6, 0
	s_and_saveexec_b64 s[22:23], s[24:25]
	s_cbranch_execz .LBB32_8
; %bb.7:
	s_load_dwordx2 s[0:1], s[4:5], 0x38
	v_mov_b32_e32 v2, 0
	v_lshlrev_b64 v[1:2], 2, v[1:2]
	v_mov_b32_e32 v9, 0x3e91f4c4
	v_mov_b32_e32 v10, 0x3ecccdef
	s_waitcnt lgkmcnt(0)
	v_mov_b32_e32 v6, s1
	v_add_co_u32_e32 v1, vcc, s0, v1
	v_addc_co_u32_e32 v2, vcc, v6, v2, vcc
	global_load_dword v6, v[1:2], off
	v_cvt_f32_i32_e32 v1, v7
	v_cmp_neq_f32_e64 vcc, s7, 1.0
	v_mov_b32_e32 v7, s7
	s_mov_b32 s0, 0x3f2aaaab
	v_cndmask_b32_e32 v2, 1.0, v1, vcc
	v_cmp_neq_f32_e32 vcc, 0, v2
	v_cndmask_b32_e32 v1, 1.0, v7, vcc
	v_frexp_mant_f32_e64 v11, |v1|
	v_cmp_gt_f32_e32 vcc, s0, v11
	v_cvt_f64_f32_e64 v[7:8], |v1|
	v_cndmask_b32_e64 v12, 1.0, 2.0, vcc
	v_mul_f32_e32 v11, v11, v12
	v_add_f32_e32 v13, 1.0, v11
	v_rcp_f32_e32 v14, v13
	v_frexp_exp_i32_f64_e32 v7, v[7:8]
	v_add_f32_e32 v12, -1.0, v11
	v_add_f32_e32 v15, -1.0, v13
	v_sub_f32_e32 v8, v11, v15
	v_mul_f32_e32 v11, v12, v14
	v_mul_f32_e32 v15, v13, v11
	v_fma_f32 v13, v11, v13, -v15
	v_fmac_f32_e32 v13, v11, v8
	v_add_f32_e32 v8, v15, v13
	v_subbrev_co_u32_e32 v7, vcc, 0, v7, vcc
	v_sub_f32_e32 v16, v12, v8
	v_sub_f32_e32 v15, v8, v15
	v_cvt_f32_i32_e32 v7, v7
	v_sub_f32_e32 v12, v12, v16
	v_sub_f32_e32 v13, v15, v13
	;; [unrolled: 1-line block ×3, first 2 shown]
	v_add_f32_e32 v8, v13, v8
	v_add_f32_e32 v8, v16, v8
	s_mov_b32 s1, 0x3f317218
	v_mul_f32_e32 v12, 0x3f317218, v7
	v_mul_f32_e32 v8, v14, v8
	v_fma_f32 v13, v7, s1, -v12
	v_add_f32_e32 v14, v11, v8
	v_fmac_f32_e32 v13, 0xb102e308, v7
	v_sub_f32_e32 v7, v14, v11
	v_mul_f32_e32 v11, v14, v14
	v_sub_f32_e32 v7, v8, v7
	v_fma_f32 v8, v14, v14, -v11
	v_add_f32_e32 v15, v7, v7
	v_fmac_f32_e32 v8, v14, v15
	v_add_f32_e32 v15, v11, v8
	v_fmac_f32_e32 v9, 0x3e76c4e1, v15
	v_mul_f32_e32 v17, v14, v15
	v_sub_f32_e32 v11, v15, v11
	v_fmac_f32_e32 v10, v15, v9
	v_fma_f32 v9, v15, v14, -v17
	v_ldexp_f32 v16, v7, 1
	v_sub_f32_e32 v8, v8, v11
	v_fmac_f32_e32 v9, v15, v7
	v_mul_f32_e32 v7, v15, v10
	v_fmac_f32_e32 v9, v8, v14
	v_fma_f32 v11, v15, v10, -v7
	v_add_f32_e32 v15, v17, v9
	v_fmac_f32_e32 v11, v8, v10
	v_sub_f32_e32 v8, v15, v17
	v_add_f32_e32 v10, v7, v11
	v_sub_f32_e32 v8, v9, v8
	v_add_f32_e32 v9, 0x3f2aaaaa, v10
	v_sub_f32_e32 v7, v10, v7
	v_sub_f32_e32 v7, v11, v7
	v_add_f32_e32 v11, 0xbf2aaaaa, v9
	v_add_f32_e32 v7, 0x31739010, v7
	v_sub_f32_e32 v10, v10, v11
	v_add_f32_e32 v7, v7, v10
	v_add_f32_e32 v10, v9, v7
	v_sub_f32_e32 v9, v9, v10
	v_mul_f32_e32 v11, v15, v10
	v_add_f32_e32 v7, v7, v9
	v_fma_f32 v9, v15, v10, -v11
	v_fmac_f32_e32 v9, v15, v7
	v_fmac_f32_e32 v9, v8, v10
	v_add_f32_e32 v8, v12, v13
	v_sub_f32_e32 v10, v8, v12
	v_add_f32_e32 v12, v11, v9
	v_ldexp_f32 v7, v14, 1
	v_sub_f32_e32 v11, v12, v11
	v_sub_f32_e32 v9, v9, v11
	v_add_f32_e32 v11, v7, v12
	v_sub_f32_e32 v7, v11, v7
	v_sub_f32_e32 v7, v12, v7
	v_add_f32_e32 v9, v16, v9
	v_add_f32_e32 v7, v9, v7
	;; [unrolled: 1-line block ×3, first 2 shown]
	v_sub_f32_e32 v11, v9, v11
	v_sub_f32_e32 v7, v7, v11
	v_add_f32_e32 v11, v8, v9
	v_sub_f32_e32 v12, v11, v8
	v_sub_f32_e32 v10, v13, v10
	v_sub_f32_e32 v13, v11, v12
	v_sub_f32_e32 v8, v8, v13
	v_sub_f32_e32 v9, v9, v12
	v_add_f32_e32 v8, v9, v8
	v_add_f32_e32 v9, v10, v7
	v_sub_f32_e32 v12, v9, v10
	v_sub_f32_e32 v13, v9, v12
	v_add_f32_e32 v8, v9, v8
	v_sub_f32_e32 v10, v10, v13
	v_sub_f32_e32 v7, v7, v12
	v_add_f32_e32 v9, v11, v8
	v_add_f32_e32 v7, v7, v10
	v_sub_f32_e32 v10, v9, v11
	v_sub_f32_e32 v8, v8, v10
	v_add_f32_e32 v7, v7, v8
	v_add_f32_e32 v8, v9, v7
	v_sub_f32_e32 v9, v8, v9
	v_sub_f32_e32 v7, v7, v9
	v_mul_f32_e32 v9, v2, v8
	v_fma_f32 v8, v2, v8, -v9
	v_fmac_f32_e32 v8, v2, v7
	s_movk_i32 s2, 0x204
	v_add_f32_e32 v7, v9, v8
	v_cmp_class_f32_e64 vcc, v9, s2
	v_sub_f32_e32 v10, v7, v9
	v_cndmask_b32_e32 v7, v7, v9, vcc
	s_mov_b32 s1, 0x42b17218
	v_mov_b32_e32 v9, 0x37000000
	v_cmp_eq_f32_e32 vcc, s1, v7
	v_cndmask_b32_e32 v9, 0, v9, vcc
	v_sub_f32_e32 v8, v8, v10
	v_sub_f32_e32 v10, v7, v9
	s_mov_b32 s3, 0x3fb8aa3b
	v_mul_f32_e32 v11, 0x3fb8aa3b, v10
	v_fma_f32 v12, v10, s3, -v11
	v_rndne_f32_e32 v13, v11
	v_fmac_f32_e32 v12, 0x32a5705f, v10
	v_sub_f32_e32 v11, v11, v13
	v_add_f32_e32 v11, v11, v12
	v_exp_f32_e32 v11, v11
	v_cvt_i32_f32_e32 v12, v13
	s_mov_b32 s0, 0x7f800000
	v_cmp_neq_f32_e64 vcc, |v7|, s0
	s_mov_b32 s0, 0xc2ce8ed0
	v_cndmask_b32_e32 v7, 0, v8, vcc
	v_ldexp_f32 v8, v11, v12
	v_cmp_ngt_f32_e32 vcc, s0, v10
	v_add_f32_e32 v7, v9, v7
	v_cndmask_b32_e32 v8, 0, v8, vcc
	v_mov_b32_e32 v9, 0x7f800000
	v_cmp_nlt_f32_e32 vcc, s1, v10
	v_cndmask_b32_e32 v8, v9, v8, vcc
	v_fma_f32 v7, v8, v7, v8
	v_cmp_class_f32_e64 vcc, v8, s2
	v_cndmask_b32_e32 v7, v7, v8, vcc
	v_trunc_f32_e32 v8, v2
	v_cmp_eq_f32_e32 vcc, v8, v2
	v_mul_f32_e32 v8, 0.5, v2
	v_trunc_f32_e32 v11, v8
	v_cmp_neq_f32_e64 s[0:1], v11, v8
	s_and_b64 s[0:1], vcc, s[0:1]
	v_cndmask_b32_e64 v8, 1.0, v1, s[0:1]
	s_brev_b32 s7, -2
	v_mov_b32_e32 v10, 0x7fc00000
	v_bfi_b32 v7, s7, v7, v8
	v_cndmask_b32_e32 v8, v10, v7, vcc
	v_cmp_gt_f32_e32 vcc, 0, v1
	v_cndmask_b32_e32 v7, v7, v8, vcc
	v_cmp_class_f32_e64 s[24:25], v1, s2
	v_cmp_eq_f32_e32 vcc, 0, v1
	v_cmp_gt_f32_e64 s[2:3], 0, v2
	s_xor_b64 s[2:3], s[2:3], vcc
	s_waitcnt vmcnt(0)
	v_cvt_f32_i32_e32 v6, v6
	v_cndmask_b32_e64 v2, v9, 0, s[2:3]
	v_cndmask_b32_e64 v8, 0, v1, s[0:1]
	v_bfi_b32 v2, s7, v2, v8
	s_or_b64 vcc, vcc, s[24:25]
	v_cndmask_b32_e32 v2, v7, v2, vcc
	v_cmp_o_f32_e32 vcc, v1, v1
	v_cndmask_b32_e32 v1, v10, v2, vcc
	v_mul_f32_e32 v6, v1, v6
.LBB32_8:
	s_or_b64 exec, exec, s[22:23]
	s_waitcnt lgkmcnt(0)
	v_cmp_eq_f32_e64 s[0:1], s17, 0
	v_mul_f32_e32 v1, s16, v6
	s_and_b64 vcc, exec, s[0:1]
	s_cbranch_vccnz .LBB32_10
; %bb.9:
	v_cvt_f32_i32_e32 v2, v0
	v_div_scale_f32 v8, s[0:1], s16, s16, 1.0
	v_mov_b32_e32 v7, s19
	v_sub_f32_e32 v7, s6, v7
	v_subrev_f32_e32 v2, s19, v2
	v_max_f32_e32 v7, 0x3a83126f, v7
	v_div_scale_f32 v9, s[0:1], v7, v7, v2
	v_div_scale_f32 v10, s[0:1], 1.0, s16, 1.0
	v_div_scale_f32 v11, vcc, v2, v7, v2
	s_mov_b32 s2, 0x3f317217
	s_mov_b32 s3, 0x7f800000
	v_rcp_f32_e32 v12, v8
	v_fma_f32 v13, -v8, v12, 1.0
	v_fmac_f32_e32 v12, v13, v12
	v_rcp_f32_e32 v14, v9
	v_mul_f32_e32 v13, v10, v12
	v_fma_f32 v15, -v8, v13, v10
	v_fmac_f32_e32 v13, v15, v12
	v_fma_f32 v15, -v9, v14, 1.0
	v_fmac_f32_e32 v14, v15, v14
	v_fma_f32 v8, -v8, v13, v10
	v_mul_f32_e32 v10, v11, v14
	v_fma_f32 v15, -v9, v10, v11
	v_fmac_f32_e32 v10, v15, v14
	v_fma_f32 v9, -v9, v10, v11
	v_div_fmas_f32 v9, v9, v14, v10
	s_mov_b64 vcc, s[0:1]
	v_div_fmas_f32 v8, v8, v12, v13
	s_mov_b32 s0, 0x800000
	v_mov_b32_e32 v10, 0x41b17218
	v_div_fixup_f32 v2, v9, v7, v2 clamp
	v_sub_f32_e32 v2, 1.0, v2
	v_div_fixup_f32 v7, v8, s16, 1.0
	v_cmp_gt_f32_e32 vcc, s0, v7
	s_and_b64 s[0:1], vcc, exec
	s_cselect_b32 s0, 32, 0
	v_ldexp_f32 v7, v7, s0
	v_log_f32_e32 v7, v7
	v_mul_f32_e32 v8, s17, v2
	v_fma_f32 v2, -s17, v2, 1.0
	v_mul_f32_e32 v1, v2, v1
	v_mul_f32_e32 v2, 0x3f317217, v7
	v_fma_f32 v2, v7, s2, -v2
	v_fmac_f32_e32 v2, 0x3377d1cf, v7
	v_cndmask_b32_e32 v9, 0, v10, vcc
	v_fmac_f32_e32 v2, 0x3f317217, v7
	v_cmp_lt_f32_e64 vcc, |v7|, s3
	v_cndmask_b32_e32 v2, v7, v2, vcc
	v_sub_f32_e32 v2, v2, v9
	s_mov_b32 s0, 0x3dcccccd
	v_fma_f32 v2, v2, s0, 1.0
	v_fmac_f32_e32 v1, v8, v6
	v_mul_f32_e32 v2, s18, v2
	s_branch .LBB32_11
.LBB32_10:
	v_mov_b32_e32 v2, s18
.LBB32_11:
	v_and_b32_e32 v6, 0x7fffffff, v1
	s_brev_b32 s0, 18
	v_cmp_nlt_f32_e64 s[16:17], |v1|, s0
	v_lshrrev_b32_e32 v9, 23, v6
                                        ; implicit-def: $vgpr8
                                        ; implicit-def: $vgpr7
	s_and_saveexec_b64 s[0:1], s[16:17]
	s_xor_b64 s[18:19], exec, s[0:1]
	s_cbranch_execz .LBB32_13
; %bb.12:
	v_and_b32_e32 v7, 0x7fffff, v6
	v_or_b32_e32 v18, 0x800000, v7
	s_mov_b32 s0, 0xfe5163ab
	v_mad_u64_u32 v[7:8], s[0:1], v18, s0, 0
	v_mov_b32_e32 v11, 0
	s_mov_b32 s0, 0x3c439041
	v_mov_b32_e32 v10, v8
	v_mad_u64_u32 v[12:13], s[0:1], v18, s0, v[10:11]
	s_mov_b32 s0, 0xdb629599
	v_add_u32_e32 v8, 0xffffff88, v9
	v_mov_b32_e32 v10, v13
	v_mad_u64_u32 v[13:14], s[0:1], v18, s0, v[10:11]
	s_mov_b32 s0, 0xf534ddc0
	v_not_b32_e32 v17, 63
	v_mov_b32_e32 v10, v14
	v_mad_u64_u32 v[14:15], s[0:1], v18, s0, v[10:11]
	s_mov_b32 s0, 0xfc2757d1
	v_cmp_lt_u32_e32 vcc, 63, v8
	v_mov_b32_e32 v10, v15
	v_mad_u64_u32 v[15:16], s[0:1], v18, s0, v[10:11]
	v_cndmask_b32_e32 v10, 0, v17, vcc
	v_add_u32_e32 v8, v10, v8
	v_mov_b32_e32 v10, v16
	s_mov_b32 s0, 0x4e441529
	v_mad_u64_u32 v[16:17], s[0:1], v18, s0, v[10:11]
	v_not_b32_e32 v19, 31
	v_cmp_lt_u32_e64 s[0:1], 31, v8
	v_cndmask_b32_e64 v10, 0, v19, s[0:1]
	v_add_u32_e32 v8, v10, v8
	v_mov_b32_e32 v10, v17
	s_mov_b32 s2, 0xa2f9836e
	v_mad_u64_u32 v[10:11], s[2:3], v18, s2, v[10:11]
	v_cmp_lt_u32_e64 s[2:3], 31, v8
	v_cndmask_b32_e64 v17, 0, v19, s[2:3]
	v_add_u32_e32 v8, v17, v8
	v_cndmask_b32_e32 v17, v16, v14, vcc
	v_cndmask_b32_e32 v10, v10, v15, vcc
	;; [unrolled: 1-line block ×3, first 2 shown]
	v_cndmask_b32_e64 v18, v10, v17, s[0:1]
	v_cndmask_b32_e64 v10, v11, v10, s[0:1]
	v_cndmask_b32_e32 v11, v15, v13, vcc
	v_cndmask_b32_e64 v15, v17, v11, s[0:1]
	v_cndmask_b32_e64 v10, v10, v18, s[2:3]
	;; [unrolled: 1-line block ×3, first 2 shown]
	v_sub_u32_e32 v17, 32, v8
	v_alignbit_b32 v18, v10, v16, v17
	v_cmp_eq_u32_e64 s[6:7], 0, v8
	v_cndmask_b32_e64 v8, v18, v10, s[6:7]
	v_cndmask_b32_e32 v10, v14, v12, vcc
	v_cndmask_b32_e64 v11, v11, v10, s[0:1]
	v_cndmask_b32_e64 v12, v15, v11, s[2:3]
	v_alignbit_b32 v14, v16, v12, v17
	v_cndmask_b32_e32 v7, v13, v7, vcc
	v_cndmask_b32_e64 v14, v14, v16, s[6:7]
	v_bfe_u32 v18, v8, 29, 1
	v_cndmask_b32_e64 v7, v10, v7, s[0:1]
	v_alignbit_b32 v15, v8, v14, 30
	v_sub_u32_e32 v19, 0, v18
	v_cndmask_b32_e64 v7, v11, v7, s[2:3]
	v_xor_b32_e32 v15, v15, v19
	v_alignbit_b32 v10, v12, v7, v17
	v_cndmask_b32_e64 v10, v10, v12, s[6:7]
	v_ffbh_u32_e32 v12, v15
	v_alignbit_b32 v11, v14, v10, 30
	v_min_u32_e32 v12, 32, v12
	v_alignbit_b32 v7, v10, v7, 30
	v_xor_b32_e32 v11, v11, v19
	v_sub_u32_e32 v13, 31, v12
	v_xor_b32_e32 v7, v7, v19
	v_alignbit_b32 v14, v15, v11, v13
	v_alignbit_b32 v7, v11, v7, v13
	;; [unrolled: 1-line block ×3, first 2 shown]
	v_ffbh_u32_e32 v11, v10
	v_min_u32_e32 v11, 32, v11
	v_lshrrev_b32_e32 v16, 29, v8
	v_not_b32_e32 v13, v11
	v_alignbit_b32 v7, v10, v7, v13
	v_lshlrev_b32_e32 v10, 31, v16
	v_or_b32_e32 v13, 0x33000000, v10
	v_add_lshl_u32 v11, v11, v12, 23
	v_lshrrev_b32_e32 v7, 9, v7
	v_sub_u32_e32 v11, v13, v11
	v_or_b32_e32 v10, 0.5, v10
	v_lshlrev_b32_e32 v12, 23, v12
	v_or_b32_e32 v7, v11, v7
	v_lshrrev_b32_e32 v11, 9, v14
	v_sub_u32_e32 v10, v10, v12
	v_or_b32_e32 v10, v11, v10
	s_mov_b32 s0, 0x3fc90fda
	v_mul_f32_e32 v11, 0x3fc90fda, v10
	v_fma_f32 v12, v10, s0, -v11
	v_fmac_f32_e32 v12, 0x33a22168, v10
	v_fmac_f32_e32 v12, 0x3fc90fda, v7
	v_lshrrev_b32_e32 v8, 30, v8
	v_add_f32_e32 v7, v11, v12
	v_add_u32_e32 v8, v18, v8
	s_andn2_saveexec_b64 s[0:1], s[18:19]
	s_cbranch_execz .LBB32_15
	s_branch .LBB32_14
.LBB32_13:
	s_andn2_saveexec_b64 s[0:1], s[18:19]
	s_cbranch_execz .LBB32_15
.LBB32_14:
	s_mov_b32 s2, 0x3f22f983
	v_mul_f32_e64 v7, |v1|, s2
	v_rndne_f32_e32 v10, v7
	s_mov_b32 s2, 0xbfc90fda
	v_cvt_i32_f32_e32 v8, v10
	v_fma_f32 v7, v10, s2, |v1|
	v_fmac_f32_e32 v7, 0xb3a22168, v10
	v_fmac_f32_e32 v7, 0xa7c234c4, v10
.LBB32_15:
	s_or_b64 exec, exec, s[0:1]
                                        ; implicit-def: $vgpr11
                                        ; implicit-def: $vgpr10
	s_and_saveexec_b64 s[0:1], s[16:17]
	s_xor_b64 s[16:17], exec, s[0:1]
	s_cbranch_execz .LBB32_17
; %bb.16:
	v_and_b32_e32 v10, 0x7fffff, v6
	v_or_b32_e32 v19, 0x800000, v10
	s_mov_b32 s0, 0xfe5163ab
	v_mad_u64_u32 v[10:11], s[0:1], v19, s0, 0
	v_mov_b32_e32 v12, 0
	s_mov_b32 s0, 0x3c439041
	v_mad_u64_u32 v[13:14], s[0:1], v19, s0, v[11:12]
	s_mov_b32 s0, 0xdb629599
	v_add_u32_e32 v9, 0xffffff88, v9
	v_mov_b32_e32 v11, v14
	v_mad_u64_u32 v[14:15], s[0:1], v19, s0, v[11:12]
	s_mov_b32 s0, 0xf534ddc0
	v_not_b32_e32 v18, 63
	v_mov_b32_e32 v11, v15
	v_mad_u64_u32 v[15:16], s[0:1], v19, s0, v[11:12]
	s_mov_b32 s0, 0xfc2757d1
	v_cmp_lt_u32_e32 vcc, 63, v9
	v_mov_b32_e32 v11, v16
	v_mad_u64_u32 v[16:17], s[0:1], v19, s0, v[11:12]
	v_cndmask_b32_e32 v11, 0, v18, vcc
	v_add_u32_e32 v9, v11, v9
	v_mov_b32_e32 v11, v17
	s_mov_b32 s0, 0x4e441529
	v_mad_u64_u32 v[17:18], s[0:1], v19, s0, v[11:12]
	v_not_b32_e32 v20, 31
	v_cmp_lt_u32_e64 s[0:1], 31, v9
	v_cndmask_b32_e64 v11, 0, v20, s[0:1]
	v_add_u32_e32 v9, v11, v9
	v_mov_b32_e32 v11, v18
	s_mov_b32 s2, 0xa2f9836e
	v_mad_u64_u32 v[11:12], s[2:3], v19, s2, v[11:12]
	v_cmp_lt_u32_e64 s[2:3], 31, v9
	v_cndmask_b32_e64 v18, 0, v20, s[2:3]
	v_add_u32_e32 v9, v18, v9
	v_cndmask_b32_e32 v18, v17, v15, vcc
	v_cndmask_b32_e32 v11, v11, v16, vcc
	;; [unrolled: 1-line block ×3, first 2 shown]
	v_cndmask_b32_e64 v19, v11, v18, s[0:1]
	v_cndmask_b32_e64 v11, v12, v11, s[0:1]
	v_cndmask_b32_e32 v12, v16, v14, vcc
	v_cndmask_b32_e64 v16, v18, v12, s[0:1]
	v_cndmask_b32_e64 v11, v11, v19, s[2:3]
	;; [unrolled: 1-line block ×3, first 2 shown]
	v_sub_u32_e32 v18, 32, v9
	v_alignbit_b32 v19, v11, v17, v18
	v_cmp_eq_u32_e64 s[6:7], 0, v9
	v_cndmask_b32_e64 v9, v19, v11, s[6:7]
	v_cndmask_b32_e32 v11, v15, v13, vcc
	v_cndmask_b32_e64 v12, v12, v11, s[0:1]
	v_cndmask_b32_e64 v13, v16, v12, s[2:3]
	v_alignbit_b32 v15, v17, v13, v18
	v_cndmask_b32_e32 v10, v14, v10, vcc
	v_cndmask_b32_e64 v15, v15, v17, s[6:7]
	v_bfe_u32 v19, v9, 29, 1
	v_cndmask_b32_e64 v10, v11, v10, s[0:1]
	v_alignbit_b32 v16, v9, v15, 30
	v_sub_u32_e32 v20, 0, v19
	v_cndmask_b32_e64 v10, v12, v10, s[2:3]
	v_xor_b32_e32 v16, v16, v20
	v_alignbit_b32 v11, v13, v10, v18
	v_cndmask_b32_e64 v11, v11, v13, s[6:7]
	v_ffbh_u32_e32 v13, v16
	v_alignbit_b32 v12, v15, v11, 30
	v_min_u32_e32 v13, 32, v13
	v_alignbit_b32 v10, v11, v10, 30
	v_xor_b32_e32 v12, v12, v20
	v_sub_u32_e32 v14, 31, v13
	v_xor_b32_e32 v10, v10, v20
	v_alignbit_b32 v15, v16, v12, v14
	v_alignbit_b32 v10, v12, v10, v14
	;; [unrolled: 1-line block ×3, first 2 shown]
	v_ffbh_u32_e32 v12, v11
	v_min_u32_e32 v12, 32, v12
	v_lshrrev_b32_e32 v17, 29, v9
	v_not_b32_e32 v14, v12
	v_alignbit_b32 v10, v11, v10, v14
	v_lshlrev_b32_e32 v11, 31, v17
	v_or_b32_e32 v14, 0x33000000, v11
	v_add_lshl_u32 v12, v12, v13, 23
	v_lshrrev_b32_e32 v10, 9, v10
	v_sub_u32_e32 v12, v14, v12
	v_or_b32_e32 v11, 0.5, v11
	v_lshlrev_b32_e32 v13, 23, v13
	v_or_b32_e32 v10, v12, v10
	v_lshrrev_b32_e32 v12, 9, v15
	v_sub_u32_e32 v11, v11, v13
	v_or_b32_e32 v11, v12, v11
	s_mov_b32 s0, 0x3fc90fda
	v_mul_f32_e32 v12, 0x3fc90fda, v11
	v_fma_f32 v13, v11, s0, -v12
	v_fmac_f32_e32 v13, 0x33a22168, v11
	v_fmac_f32_e32 v13, 0x3fc90fda, v10
	v_lshrrev_b32_e32 v9, 30, v9
	v_add_f32_e32 v10, v12, v13
	v_add_u32_e32 v11, v19, v9
	s_andn2_saveexec_b64 s[0:1], s[16:17]
	s_cbranch_execnz .LBB32_18
	s_branch .LBB32_19
.LBB32_17:
	s_andn2_saveexec_b64 s[0:1], s[16:17]
	s_cbranch_execz .LBB32_19
.LBB32_18:
	s_mov_b32 s2, 0x3f22f983
	v_mul_f32_e64 v9, |v1|, s2
	v_rndne_f32_e32 v9, v9
	s_mov_b32 s2, 0xbfc90fda
	v_cvt_i32_f32_e32 v11, v9
	v_fma_f32 v10, v9, s2, |v1|
	v_fmac_f32_e32 v10, 0xb3a22168, v9
	v_fmac_f32_e32 v10, 0xa7c234c4, v9
.LBB32_19:
	s_or_b64 exec, exec, s[0:1]
	v_mul_lo_u32 v9, v4, s9
	v_mul_lo_u32 v14, v4, s12
	s_load_dwordx4 s[0:3], s[4:5], 0x0
	v_mad_u64_u32 v[12:13], s[4:5], v3, s13, v[0:1]
	v_sub_u32_e32 v5, v5, v9
	v_mul_lo_u32 v9, v5, s11
	s_waitcnt lgkmcnt(0)
	v_mov_b32_e32 v15, s1
	s_ashr_i32 s1, s21, 31
	v_mov_b32_e32 v18, 0x3c0881c4
	v_add3_u32 v12, v12, v14, v9
	v_ashrrev_i32_e32 v13, 31, v12
	v_lshlrev_b64 v[12:13], 1, v[12:13]
	v_mov_b32_e32 v19, 0xbe2aaa9d
	v_add_co_u32_e32 v12, vcc, s0, v12
	s_mov_b32 s0, s21
	v_addc_co_u32_e32 v13, vcc, v15, v13, vcc
	s_lshl_b64 s[0:1], s[0:1], 1
	v_mov_b32_e32 v9, s1
	v_add_co_u32_e32 v14, vcc, s0, v12
	v_addc_co_u32_e32 v15, vcc, v13, v9, vcc
	global_load_ushort v16, v[12:13], off
	global_load_ushort v17, v[14:15], off
	v_mul_f32_e32 v14, v7, v7
	v_mov_b32_e32 v15, 0x3c0881c4
	v_mad_u64_u32 v[12:13], s[4:5], v3, s20, v[0:1]
	v_mul_f32_e32 v0, v10, v10
	v_fmac_f32_e32 v18, 0xb94c1982, v14
	v_fmac_f32_e32 v15, 0xb94c1982, v0
	v_fma_f32 v3, v14, v18, v19
	v_mov_b32_e32 v13, 0xbab64f3b
	v_lshlrev_b32_e32 v18, 30, v11
	v_mov_b32_e32 v20, 0xbab64f3b
	v_fmac_f32_e32 v19, v0, v15
	v_fmac_f32_e32 v13, 0x37d75334, v14
	v_mov_b32_e32 v15, 0x3d2aabf7
	v_xor_b32_e32 v6, v6, v1
	v_and_b32_e32 v18, 0x80000000, v18
	v_fmac_f32_e32 v20, 0x37d75334, v0
	v_fma_f32 v13, v14, v13, v15
	v_xor_b32_e32 v6, v6, v18
	v_mov_b32_e32 v18, 0xbf000004
	v_mul_f32_e32 v3, v14, v3
	v_fmac_f32_e32 v15, v0, v20
	v_fma_f32 v13, v14, v13, v18
	v_fmac_f32_e32 v7, v7, v3
	v_and_b32_e32 v3, 1, v8
	v_fmac_f32_e32 v18, v0, v15
	v_fma_f32 v13, v14, v13, 1.0
	v_and_b32_e32 v11, 1, v11
	v_mul_f32_e32 v15, v0, v19
	v_cmp_eq_u32_e32 vcc, 0, v3
	v_mul_lo_u32 v4, v4, s15
	v_fmac_f32_e32 v10, v10, v15
	v_fma_f32 v0, v0, v18, 1.0
	v_cndmask_b32_e64 v3, -v7, v13, vcc
	v_mul_lo_u32 v5, v5, s14
	v_cmp_eq_u32_e32 vcc, 0, v11
	v_lshlrev_b32_e32 v8, 30, v8
	s_movk_i32 s1, 0x1f8
	v_cndmask_b32_e32 v0, v0, v10, vcc
	v_mov_b32_e32 v14, 0x7fc00000
	v_and_b32_e32 v8, 0x80000000, v8
	v_xor_b32_e32 v0, v6, v0
	v_cmp_class_f32_e64 vcc, v1, s1
	v_xor_b32_e32 v3, v8, v3
	v_cndmask_b32_e32 v0, v14, v0, vcc
	v_cndmask_b32_e32 v1, v14, v3, vcc
	v_mul_f32_e64 v8, v0, -v2
	v_add3_u32 v0, v12, v4, v5
	v_mul_f32_e32 v6, v2, v1
	v_ashrrev_i32_e32 v1, 31, v0
	v_lshlrev_b64 v[0:1], 1, v[0:1]
	v_mov_b32_e32 v7, s3
	v_add_co_u32_e32 v0, vcc, s2, v0
	v_addc_co_u32_e32 v1, vcc, v7, v1, vcc
	v_add_co_u32_e32 v2, vcc, s0, v0
	v_addc_co_u32_e32 v3, vcc, v1, v9, vcc
	s_waitcnt vmcnt(1)
	v_cvt_f32_f16_e32 v4, v16
	s_waitcnt vmcnt(0)
	v_cvt_f32_f16_e32 v5, v17
	v_mul_f32_e32 v4, v8, v4
	v_mul_f32_e32 v5, v8, v5
	v_fma_mixlo_f16 v5, v6, v16, -v5 op_sel_hi:[0,1,0]
	v_fma_mixlo_f16 v4, v6, v17, v4 op_sel_hi:[0,1,0]
	global_store_short v[0:1], v5, off
	global_store_short v[2:3], v4, off
.LBB32_20:
	s_endpgm
	.section	.rodata,"a",@progbits
	.p2align	6, 0x0
	.amdhsa_kernel _ZL11rope_visionILb0ELb0E6__halfEvPKT1_PS1_iiiiiiiiiiPKifff14rope_corr_dimsfPKf14mrope_sections
		.amdhsa_group_segment_fixed_size 0
		.amdhsa_private_segment_fixed_size 0
		.amdhsa_kernarg_size 368
		.amdhsa_user_sgpr_count 6
		.amdhsa_user_sgpr_private_segment_buffer 1
		.amdhsa_user_sgpr_dispatch_ptr 0
		.amdhsa_user_sgpr_queue_ptr 0
		.amdhsa_user_sgpr_kernarg_segment_ptr 1
		.amdhsa_user_sgpr_dispatch_id 0
		.amdhsa_user_sgpr_flat_scratch_init 0
		.amdhsa_user_sgpr_private_segment_size 0
		.amdhsa_uses_dynamic_stack 0
		.amdhsa_system_sgpr_private_segment_wavefront_offset 0
		.amdhsa_system_sgpr_workgroup_id_x 1
		.amdhsa_system_sgpr_workgroup_id_y 1
		.amdhsa_system_sgpr_workgroup_id_z 0
		.amdhsa_system_sgpr_workgroup_info 0
		.amdhsa_system_vgpr_workitem_id 1
		.amdhsa_next_free_vgpr 21
		.amdhsa_next_free_sgpr 26
		.amdhsa_reserve_vcc 1
		.amdhsa_reserve_flat_scratch 0
		.amdhsa_float_round_mode_32 0
		.amdhsa_float_round_mode_16_64 0
		.amdhsa_float_denorm_mode_32 3
		.amdhsa_float_denorm_mode_16_64 3
		.amdhsa_dx10_clamp 1
		.amdhsa_ieee_mode 1
		.amdhsa_fp16_overflow 0
		.amdhsa_exception_fp_ieee_invalid_op 0
		.amdhsa_exception_fp_denorm_src 0
		.amdhsa_exception_fp_ieee_div_zero 0
		.amdhsa_exception_fp_ieee_overflow 0
		.amdhsa_exception_fp_ieee_underflow 0
		.amdhsa_exception_fp_ieee_inexact 0
		.amdhsa_exception_int_div_zero 0
	.end_amdhsa_kernel
	.section	.text._ZL11rope_visionILb0ELb0E6__halfEvPKT1_PS1_iiiiiiiiiiPKifff14rope_corr_dimsfPKf14mrope_sections,"axG",@progbits,_ZL11rope_visionILb0ELb0E6__halfEvPKT1_PS1_iiiiiiiiiiPKifff14rope_corr_dimsfPKf14mrope_sections,comdat
.Lfunc_end32:
	.size	_ZL11rope_visionILb0ELb0E6__halfEvPKT1_PS1_iiiiiiiiiiPKifff14rope_corr_dimsfPKf14mrope_sections, .Lfunc_end32-_ZL11rope_visionILb0ELb0E6__halfEvPKT1_PS1_iiiiiiiiiiPKifff14rope_corr_dimsfPKf14mrope_sections
                                        ; -- End function
	.set _ZL11rope_visionILb0ELb0E6__halfEvPKT1_PS1_iiiiiiiiiiPKifff14rope_corr_dimsfPKf14mrope_sections.num_vgpr, 21
	.set _ZL11rope_visionILb0ELb0E6__halfEvPKT1_PS1_iiiiiiiiiiPKifff14rope_corr_dimsfPKf14mrope_sections.num_agpr, 0
	.set _ZL11rope_visionILb0ELb0E6__halfEvPKT1_PS1_iiiiiiiiiiPKifff14rope_corr_dimsfPKf14mrope_sections.numbered_sgpr, 26
	.set _ZL11rope_visionILb0ELb0E6__halfEvPKT1_PS1_iiiiiiiiiiPKifff14rope_corr_dimsfPKf14mrope_sections.num_named_barrier, 0
	.set _ZL11rope_visionILb0ELb0E6__halfEvPKT1_PS1_iiiiiiiiiiPKifff14rope_corr_dimsfPKf14mrope_sections.private_seg_size, 0
	.set _ZL11rope_visionILb0ELb0E6__halfEvPKT1_PS1_iiiiiiiiiiPKifff14rope_corr_dimsfPKf14mrope_sections.uses_vcc, 1
	.set _ZL11rope_visionILb0ELb0E6__halfEvPKT1_PS1_iiiiiiiiiiPKifff14rope_corr_dimsfPKf14mrope_sections.uses_flat_scratch, 0
	.set _ZL11rope_visionILb0ELb0E6__halfEvPKT1_PS1_iiiiiiiiiiPKifff14rope_corr_dimsfPKf14mrope_sections.has_dyn_sized_stack, 0
	.set _ZL11rope_visionILb0ELb0E6__halfEvPKT1_PS1_iiiiiiiiiiPKifff14rope_corr_dimsfPKf14mrope_sections.has_recursion, 0
	.set _ZL11rope_visionILb0ELb0E6__halfEvPKT1_PS1_iiiiiiiiiiPKifff14rope_corr_dimsfPKf14mrope_sections.has_indirect_call, 0
	.section	.AMDGPU.csdata,"",@progbits
; Kernel info:
; codeLenInByte = 3740
; TotalNumSgprs: 30
; NumVgprs: 21
; ScratchSize: 0
; MemoryBound: 0
; FloatMode: 240
; IeeeMode: 1
; LDSByteSize: 0 bytes/workgroup (compile time only)
; SGPRBlocks: 3
; VGPRBlocks: 5
; NumSGPRsForWavesPerEU: 30
; NumVGPRsForWavesPerEU: 21
; Occupancy: 10
; WaveLimiterHint : 0
; COMPUTE_PGM_RSRC2:SCRATCH_EN: 0
; COMPUTE_PGM_RSRC2:USER_SGPR: 6
; COMPUTE_PGM_RSRC2:TRAP_HANDLER: 0
; COMPUTE_PGM_RSRC2:TGID_X_EN: 1
; COMPUTE_PGM_RSRC2:TGID_Y_EN: 1
; COMPUTE_PGM_RSRC2:TGID_Z_EN: 0
; COMPUTE_PGM_RSRC2:TIDIG_COMP_CNT: 1
	.section	.text._ZL11rope_visionILb0ELb1E6__halfEvPKT1_PS1_iiiiiiiiiiPKifff14rope_corr_dimsfPKf14mrope_sections,"axG",@progbits,_ZL11rope_visionILb0ELb1E6__halfEvPKT1_PS1_iiiiiiiiiiPKifff14rope_corr_dimsfPKf14mrope_sections,comdat
	.globl	_ZL11rope_visionILb0ELb1E6__halfEvPKT1_PS1_iiiiiiiiiiPKifff14rope_corr_dimsfPKf14mrope_sections ; -- Begin function _ZL11rope_visionILb0ELb1E6__halfEvPKT1_PS1_iiiiiiiiiiPKifff14rope_corr_dimsfPKf14mrope_sections
	.p2align	8
	.type	_ZL11rope_visionILb0ELb1E6__halfEvPKT1_PS1_iiiiiiiiiiPKifff14rope_corr_dimsfPKf14mrope_sections,@function
_ZL11rope_visionILb0ELb1E6__halfEvPKT1_PS1_iiiiiiiiiiPKifff14rope_corr_dimsfPKf14mrope_sections: ; @_ZL11rope_visionILb0ELb1E6__halfEvPKT1_PS1_iiiiiiiiiiPKifff14rope_corr_dimsfPKf14mrope_sections
; %bb.0:
	s_load_dword s0, s[4:5], 0x7c
	s_load_dwordx8 s[8:15], s[4:5], 0x10
	s_add_u32 s2, s4, 0x70
	s_addc_u32 s3, s5, 0
	s_waitcnt lgkmcnt(0)
	s_lshr_b32 s0, s0, 16
	s_mul_i32 s7, s7, s0
	v_add_lshl_u32 v1, s7, v1, 1
	v_cmp_gt_i32_e32 vcc, s8, v1
	s_and_saveexec_b64 s[0:1], vcc
	s_cbranch_execz .LBB33_20
; %bb.1:
	s_mul_i32 s7, s10, s9
	s_abs_i32 s8, s7
	v_cvt_f32_u32_e32 v2, s8
	s_load_dwordx2 s[0:1], s[4:5], 0x60
	s_load_dword s16, s[2:3], 0xc
	s_sub_i32 s3, 0, s8
	v_cvt_f32_u32_e32 v3, s9
	v_rcp_iflag_f32_e32 v2, v2
	s_sub_i32 s2, 0, s9
	s_waitcnt lgkmcnt(0)
	s_add_i32 s1, s1, s0
	v_rcp_iflag_f32_e32 v3, v3
	v_mul_f32_e32 v2, 0x4f7ffffe, v2
	v_cvt_u32_f32_e32 v2, v2
	s_mov_b64 s[24:25], -1
	v_mul_f32_e32 v3, 0x4f7ffffe, v3
	v_mul_lo_u32 v4, s3, v2
	s_and_b32 s3, s16, 0xffff
	s_mul_i32 s6, s6, s3
	v_add_u32_e32 v0, s6, v0
	v_mul_hi_u32 v4, v2, v4
	v_sub_u32_e32 v5, 0, v0
	v_max_i32_e32 v5, v0, v5
	s_load_dwordx2 s[20:21], s[4:5], 0x30
	s_load_dwordx4 s[16:19], s[4:5], 0x40
	v_add_u32_e32 v2, v2, v4
	v_mul_hi_u32 v2, v5, v2
	v_cvt_u32_f32_e32 v4, v3
	v_xor_b32_e32 v3, s7, v0
	v_ashrrev_i32_e32 v3, 31, v3
	v_mul_lo_u32 v6, v2, s8
	v_add_u32_e32 v8, 1, v2
	v_mul_lo_u32 v7, s2, v4
	s_abs_i32 s2, s1
	v_sub_u32_e32 v5, v5, v6
	v_cmp_le_u32_e32 vcc, s8, v5
	v_subrev_u32_e32 v6, s8, v5
	v_cndmask_b32_e32 v2, v2, v8, vcc
	v_cndmask_b32_e32 v5, v5, v6, vcc
	v_add_u32_e32 v6, 1, v2
	v_cmp_le_u32_e32 vcc, s8, v5
	v_cndmask_b32_e32 v2, v2, v6, vcc
	v_xor_b32_e32 v2, v2, v3
	v_sub_u32_e32 v3, v2, v3
	v_mul_lo_u32 v2, s7, v3
	v_mul_hi_u32 v6, v4, v7
	v_cvt_f32_u32_e32 v7, s2
	s_sub_i32 s3, 0, s2
	v_sub_u32_e32 v5, v0, v2
	v_add_u32_e32 v0, v4, v6
	v_rcp_iflag_f32_e32 v2, v7
	v_mul_hi_u32 v0, v5, v0
	s_load_dwordx2 s[6:7], s[4:5], 0x50
	v_mul_f32_e32 v2, 0x4f7ffffe, v2
	v_cvt_u32_f32_e32 v2, v2
	v_mul_lo_u32 v4, v0, s9
	v_add_u32_e32 v7, 1, v0
	v_mul_lo_u32 v6, s3, v2
	v_sub_u32_e32 v4, v5, v4
	v_cmp_le_u32_e32 vcc, s9, v4
	v_cndmask_b32_e32 v7, v0, v7, vcc
	v_mul_hi_u32 v6, v2, v6
	v_ashrrev_i32_e32 v0, 1, v1
	v_sub_u32_e32 v8, 0, v0
	v_max_i32_e32 v8, v0, v8
	v_add_u32_e32 v2, v2, v6
	v_mul_hi_u32 v2, v8, v2
	v_subrev_u32_e32 v6, s9, v4
	v_cndmask_b32_e32 v4, v4, v6, vcc
	v_add_u32_e32 v6, 1, v7
	v_mul_lo_u32 v2, v2, s2
	v_cmp_le_u32_e32 vcc, s9, v4
	v_cndmask_b32_e32 v4, v7, v6, vcc
	v_ashrrev_i32_e32 v1, 31, v1
	v_sub_u32_e32 v2, v8, v2
	v_subrev_u32_e32 v6, s2, v2
	v_cmp_le_u32_e32 vcc, s2, v2
	v_cndmask_b32_e32 v2, v2, v6, vcc
	v_subrev_u32_e32 v6, s2, v2
	v_cmp_le_u32_e32 vcc, s2, v2
	v_cndmask_b32_e32 v2, v2, v6, vcc
	v_xor_b32_e32 v2, v2, v1
	v_sub_u32_e32 v7, v2, v1
	v_cmp_le_i32_e32 vcc, s0, v7
	v_mov_b32_e32 v1, v4
	s_and_saveexec_b64 s[2:3], vcc
	s_cbranch_execz .LBB33_6
; %bb.2:
	s_cmp_gt_i32 s1, -1
	s_cbranch_scc0 .LBB33_4
; %bb.3:
	v_subrev_u32_e32 v7, s0, v7
	v_add_u32_e32 v1, s10, v4
	s_mov_b64 s[0:1], -1
	s_branch .LBB33_5
.LBB33_4:
	s_mov_b64 s[0:1], 0
                                        ; implicit-def: $vgpr7
                                        ; implicit-def: $vgpr1
.LBB33_5:
	s_orn2_b64 s[24:25], s[0:1], exec
.LBB33_6:
	s_or_b64 exec, exec, s[2:3]
	v_mov_b32_e32 v6, 0
	s_and_saveexec_b64 s[22:23], s[24:25]
	s_cbranch_execz .LBB33_8
; %bb.7:
	s_load_dwordx2 s[0:1], s[4:5], 0x38
	v_mov_b32_e32 v2, 0
	v_lshlrev_b64 v[1:2], 2, v[1:2]
	v_mov_b32_e32 v9, 0x3e91f4c4
	v_mov_b32_e32 v10, 0x3ecccdef
	s_waitcnt lgkmcnt(0)
	v_mov_b32_e32 v6, s1
	v_add_co_u32_e32 v1, vcc, s0, v1
	v_addc_co_u32_e32 v2, vcc, v6, v2, vcc
	global_load_dword v6, v[1:2], off
	v_cvt_f32_i32_e32 v1, v7
	v_cmp_neq_f32_e64 vcc, s7, 1.0
	v_mov_b32_e32 v7, s7
	s_mov_b32 s0, 0x3f2aaaab
	v_cndmask_b32_e32 v2, 1.0, v1, vcc
	v_cmp_neq_f32_e32 vcc, 0, v2
	v_cndmask_b32_e32 v1, 1.0, v7, vcc
	v_frexp_mant_f32_e64 v11, |v1|
	v_cmp_gt_f32_e32 vcc, s0, v11
	v_cvt_f64_f32_e64 v[7:8], |v1|
	v_cndmask_b32_e64 v12, 1.0, 2.0, vcc
	v_mul_f32_e32 v11, v11, v12
	v_add_f32_e32 v13, 1.0, v11
	v_rcp_f32_e32 v14, v13
	v_frexp_exp_i32_f64_e32 v7, v[7:8]
	v_add_f32_e32 v12, -1.0, v11
	v_add_f32_e32 v15, -1.0, v13
	v_sub_f32_e32 v8, v11, v15
	v_mul_f32_e32 v11, v12, v14
	v_mul_f32_e32 v15, v13, v11
	v_fma_f32 v13, v11, v13, -v15
	v_fmac_f32_e32 v13, v11, v8
	v_add_f32_e32 v8, v15, v13
	v_subbrev_co_u32_e32 v7, vcc, 0, v7, vcc
	v_sub_f32_e32 v16, v12, v8
	v_sub_f32_e32 v15, v8, v15
	v_cvt_f32_i32_e32 v7, v7
	v_sub_f32_e32 v12, v12, v16
	v_sub_f32_e32 v13, v15, v13
	;; [unrolled: 1-line block ×3, first 2 shown]
	v_add_f32_e32 v8, v13, v8
	v_add_f32_e32 v8, v16, v8
	s_mov_b32 s1, 0x3f317218
	v_mul_f32_e32 v12, 0x3f317218, v7
	v_mul_f32_e32 v8, v14, v8
	v_fma_f32 v13, v7, s1, -v12
	v_add_f32_e32 v14, v11, v8
	v_fmac_f32_e32 v13, 0xb102e308, v7
	v_sub_f32_e32 v7, v14, v11
	v_mul_f32_e32 v11, v14, v14
	v_sub_f32_e32 v7, v8, v7
	v_fma_f32 v8, v14, v14, -v11
	v_add_f32_e32 v15, v7, v7
	v_fmac_f32_e32 v8, v14, v15
	v_add_f32_e32 v15, v11, v8
	v_fmac_f32_e32 v9, 0x3e76c4e1, v15
	v_mul_f32_e32 v17, v14, v15
	v_sub_f32_e32 v11, v15, v11
	v_fmac_f32_e32 v10, v15, v9
	v_fma_f32 v9, v15, v14, -v17
	v_ldexp_f32 v16, v7, 1
	v_sub_f32_e32 v8, v8, v11
	v_fmac_f32_e32 v9, v15, v7
	v_mul_f32_e32 v7, v15, v10
	v_fmac_f32_e32 v9, v8, v14
	v_fma_f32 v11, v15, v10, -v7
	v_add_f32_e32 v15, v17, v9
	v_fmac_f32_e32 v11, v8, v10
	v_sub_f32_e32 v8, v15, v17
	v_add_f32_e32 v10, v7, v11
	v_sub_f32_e32 v8, v9, v8
	v_add_f32_e32 v9, 0x3f2aaaaa, v10
	v_sub_f32_e32 v7, v10, v7
	v_sub_f32_e32 v7, v11, v7
	v_add_f32_e32 v11, 0xbf2aaaaa, v9
	v_add_f32_e32 v7, 0x31739010, v7
	v_sub_f32_e32 v10, v10, v11
	v_add_f32_e32 v7, v7, v10
	v_add_f32_e32 v10, v9, v7
	v_sub_f32_e32 v9, v9, v10
	v_mul_f32_e32 v11, v15, v10
	v_add_f32_e32 v7, v7, v9
	v_fma_f32 v9, v15, v10, -v11
	v_fmac_f32_e32 v9, v15, v7
	v_fmac_f32_e32 v9, v8, v10
	v_add_f32_e32 v8, v12, v13
	v_sub_f32_e32 v10, v8, v12
	v_add_f32_e32 v12, v11, v9
	v_ldexp_f32 v7, v14, 1
	v_sub_f32_e32 v11, v12, v11
	v_sub_f32_e32 v9, v9, v11
	v_add_f32_e32 v11, v7, v12
	v_sub_f32_e32 v7, v11, v7
	v_sub_f32_e32 v7, v12, v7
	v_add_f32_e32 v9, v16, v9
	v_add_f32_e32 v7, v9, v7
	v_add_f32_e32 v9, v11, v7
	v_sub_f32_e32 v11, v9, v11
	v_sub_f32_e32 v7, v7, v11
	v_add_f32_e32 v11, v8, v9
	v_sub_f32_e32 v12, v11, v8
	v_sub_f32_e32 v10, v13, v10
	;; [unrolled: 1-line block ×5, first 2 shown]
	v_add_f32_e32 v8, v9, v8
	v_add_f32_e32 v9, v10, v7
	v_sub_f32_e32 v12, v9, v10
	v_sub_f32_e32 v13, v9, v12
	v_add_f32_e32 v8, v9, v8
	v_sub_f32_e32 v10, v10, v13
	v_sub_f32_e32 v7, v7, v12
	v_add_f32_e32 v9, v11, v8
	v_add_f32_e32 v7, v7, v10
	v_sub_f32_e32 v10, v9, v11
	v_sub_f32_e32 v8, v8, v10
	v_add_f32_e32 v7, v7, v8
	v_add_f32_e32 v8, v9, v7
	v_sub_f32_e32 v9, v8, v9
	v_sub_f32_e32 v7, v7, v9
	v_mul_f32_e32 v9, v2, v8
	v_fma_f32 v8, v2, v8, -v9
	v_fmac_f32_e32 v8, v2, v7
	s_movk_i32 s2, 0x204
	v_add_f32_e32 v7, v9, v8
	v_cmp_class_f32_e64 vcc, v9, s2
	v_sub_f32_e32 v10, v7, v9
	v_cndmask_b32_e32 v7, v7, v9, vcc
	s_mov_b32 s1, 0x42b17218
	v_mov_b32_e32 v9, 0x37000000
	v_cmp_eq_f32_e32 vcc, s1, v7
	v_cndmask_b32_e32 v9, 0, v9, vcc
	v_sub_f32_e32 v8, v8, v10
	v_sub_f32_e32 v10, v7, v9
	s_mov_b32 s3, 0x3fb8aa3b
	v_mul_f32_e32 v11, 0x3fb8aa3b, v10
	v_fma_f32 v12, v10, s3, -v11
	v_rndne_f32_e32 v13, v11
	v_fmac_f32_e32 v12, 0x32a5705f, v10
	v_sub_f32_e32 v11, v11, v13
	v_add_f32_e32 v11, v11, v12
	v_exp_f32_e32 v11, v11
	v_cvt_i32_f32_e32 v12, v13
	s_mov_b32 s0, 0x7f800000
	v_cmp_neq_f32_e64 vcc, |v7|, s0
	s_mov_b32 s0, 0xc2ce8ed0
	v_cndmask_b32_e32 v7, 0, v8, vcc
	v_ldexp_f32 v8, v11, v12
	v_cmp_ngt_f32_e32 vcc, s0, v10
	v_add_f32_e32 v7, v9, v7
	v_cndmask_b32_e32 v8, 0, v8, vcc
	v_mov_b32_e32 v9, 0x7f800000
	v_cmp_nlt_f32_e32 vcc, s1, v10
	v_cndmask_b32_e32 v8, v9, v8, vcc
	v_fma_f32 v7, v8, v7, v8
	v_cmp_class_f32_e64 vcc, v8, s2
	v_cndmask_b32_e32 v7, v7, v8, vcc
	v_trunc_f32_e32 v8, v2
	v_cmp_eq_f32_e32 vcc, v8, v2
	v_mul_f32_e32 v8, 0.5, v2
	v_trunc_f32_e32 v11, v8
	v_cmp_neq_f32_e64 s[0:1], v11, v8
	s_and_b64 s[0:1], vcc, s[0:1]
	v_cndmask_b32_e64 v8, 1.0, v1, s[0:1]
	s_brev_b32 s7, -2
	v_mov_b32_e32 v10, 0x7fc00000
	v_bfi_b32 v7, s7, v7, v8
	v_cndmask_b32_e32 v8, v10, v7, vcc
	v_cmp_gt_f32_e32 vcc, 0, v1
	v_cndmask_b32_e32 v7, v7, v8, vcc
	v_cmp_class_f32_e64 s[24:25], v1, s2
	v_cmp_eq_f32_e32 vcc, 0, v1
	v_cmp_gt_f32_e64 s[2:3], 0, v2
	s_xor_b64 s[2:3], s[2:3], vcc
	s_waitcnt vmcnt(0)
	v_cvt_f32_i32_e32 v6, v6
	v_cndmask_b32_e64 v2, v9, 0, s[2:3]
	v_cndmask_b32_e64 v8, 0, v1, s[0:1]
	v_bfi_b32 v2, s7, v2, v8
	s_or_b64 vcc, vcc, s[24:25]
	v_cndmask_b32_e32 v2, v7, v2, vcc
	v_cmp_o_f32_e32 vcc, v1, v1
	v_cndmask_b32_e32 v1, v10, v2, vcc
	v_mul_f32_e32 v6, v1, v6
.LBB33_8:
	s_or_b64 exec, exec, s[22:23]
	s_load_dwordx2 s[0:1], s[4:5], 0x58
	v_ashrrev_i32_e32 v1, 31, v0
	v_lshlrev_b64 v[1:2], 2, v[0:1]
	s_waitcnt lgkmcnt(0)
	v_mov_b32_e32 v7, s1
	v_add_co_u32_e32 v1, vcc, s0, v1
	v_addc_co_u32_e32 v2, vcc, v7, v2, vcc
	global_load_dword v1, v[1:2], off
	s_waitcnt vmcnt(0)
	v_div_scale_f32 v2, s[0:1], v1, v1, v6
	v_div_scale_f32 v7, vcc, v6, v1, v6
	v_cmp_eq_f32_e64 s[0:1], s17, 0
	v_rcp_f32_e32 v8, v2
	v_fma_f32 v9, -v2, v8, 1.0
	v_fmac_f32_e32 v8, v9, v8
	v_mul_f32_e32 v9, v7, v8
	v_fma_f32 v10, -v2, v9, v7
	v_fmac_f32_e32 v9, v10, v8
	v_fma_f32 v2, -v2, v9, v7
	v_div_fmas_f32 v7, v2, v8, v9
	s_and_b64 vcc, exec, s[0:1]
	v_div_fixup_f32 v6, v7, v1, v6
	v_mul_f32_e32 v1, s16, v6
	s_cbranch_vccnz .LBB33_10
; %bb.9:
	v_cvt_f32_i32_e32 v2, v0
	v_div_scale_f32 v8, s[0:1], s16, s16, 1.0
	v_mov_b32_e32 v7, s19
	v_sub_f32_e32 v7, s6, v7
	v_subrev_f32_e32 v2, s19, v2
	v_max_f32_e32 v7, 0x3a83126f, v7
	v_div_scale_f32 v9, s[0:1], v7, v7, v2
	v_div_scale_f32 v10, s[0:1], 1.0, s16, 1.0
	v_div_scale_f32 v11, vcc, v2, v7, v2
	s_mov_b32 s2, 0x3f317217
	s_mov_b32 s3, 0x7f800000
	v_rcp_f32_e32 v12, v8
	v_fma_f32 v13, -v8, v12, 1.0
	v_fmac_f32_e32 v12, v13, v12
	v_rcp_f32_e32 v14, v9
	v_mul_f32_e32 v13, v10, v12
	v_fma_f32 v15, -v8, v13, v10
	v_fmac_f32_e32 v13, v15, v12
	v_fma_f32 v15, -v9, v14, 1.0
	v_fmac_f32_e32 v14, v15, v14
	v_fma_f32 v8, -v8, v13, v10
	v_mul_f32_e32 v10, v11, v14
	v_fma_f32 v15, -v9, v10, v11
	v_fmac_f32_e32 v10, v15, v14
	v_fma_f32 v9, -v9, v10, v11
	v_div_fmas_f32 v9, v9, v14, v10
	s_mov_b64 vcc, s[0:1]
	v_div_fmas_f32 v8, v8, v12, v13
	s_mov_b32 s0, 0x800000
	v_mov_b32_e32 v10, 0x41b17218
	v_div_fixup_f32 v2, v9, v7, v2 clamp
	v_sub_f32_e32 v2, 1.0, v2
	v_div_fixup_f32 v7, v8, s16, 1.0
	v_cmp_gt_f32_e32 vcc, s0, v7
	s_and_b64 s[0:1], vcc, exec
	s_cselect_b32 s0, 32, 0
	v_ldexp_f32 v7, v7, s0
	v_log_f32_e32 v7, v7
	v_mul_f32_e32 v8, s17, v2
	v_fma_f32 v2, -s17, v2, 1.0
	v_mul_f32_e32 v1, v2, v1
	v_mul_f32_e32 v2, 0x3f317217, v7
	v_fma_f32 v2, v7, s2, -v2
	v_fmac_f32_e32 v2, 0x3377d1cf, v7
	v_cndmask_b32_e32 v9, 0, v10, vcc
	v_fmac_f32_e32 v2, 0x3f317217, v7
	v_cmp_lt_f32_e64 vcc, |v7|, s3
	v_cndmask_b32_e32 v2, v7, v2, vcc
	v_sub_f32_e32 v2, v2, v9
	s_mov_b32 s0, 0x3dcccccd
	v_fma_f32 v2, v2, s0, 1.0
	v_fmac_f32_e32 v1, v8, v6
	v_mul_f32_e32 v2, s18, v2
	s_branch .LBB33_11
.LBB33_10:
	v_mov_b32_e32 v2, s18
.LBB33_11:
	v_and_b32_e32 v6, 0x7fffffff, v1
	s_brev_b32 s0, 18
	v_cmp_nlt_f32_e64 s[16:17], |v1|, s0
	v_lshrrev_b32_e32 v9, 23, v6
                                        ; implicit-def: $vgpr8
                                        ; implicit-def: $vgpr7
	s_and_saveexec_b64 s[0:1], s[16:17]
	s_xor_b64 s[18:19], exec, s[0:1]
	s_cbranch_execz .LBB33_13
; %bb.12:
	v_and_b32_e32 v7, 0x7fffff, v6
	v_or_b32_e32 v18, 0x800000, v7
	s_mov_b32 s0, 0xfe5163ab
	v_mad_u64_u32 v[7:8], s[0:1], v18, s0, 0
	v_mov_b32_e32 v11, 0
	s_mov_b32 s0, 0x3c439041
	v_mov_b32_e32 v10, v8
	v_mad_u64_u32 v[12:13], s[0:1], v18, s0, v[10:11]
	s_mov_b32 s0, 0xdb629599
	v_add_u32_e32 v8, 0xffffff88, v9
	v_mov_b32_e32 v10, v13
	v_mad_u64_u32 v[13:14], s[0:1], v18, s0, v[10:11]
	s_mov_b32 s0, 0xf534ddc0
	v_not_b32_e32 v17, 63
	v_mov_b32_e32 v10, v14
	v_mad_u64_u32 v[14:15], s[0:1], v18, s0, v[10:11]
	s_mov_b32 s0, 0xfc2757d1
	v_cmp_lt_u32_e32 vcc, 63, v8
	v_mov_b32_e32 v10, v15
	v_mad_u64_u32 v[15:16], s[0:1], v18, s0, v[10:11]
	v_cndmask_b32_e32 v10, 0, v17, vcc
	v_add_u32_e32 v8, v10, v8
	v_mov_b32_e32 v10, v16
	s_mov_b32 s0, 0x4e441529
	v_mad_u64_u32 v[16:17], s[0:1], v18, s0, v[10:11]
	v_not_b32_e32 v19, 31
	v_cmp_lt_u32_e64 s[0:1], 31, v8
	v_cndmask_b32_e64 v10, 0, v19, s[0:1]
	v_add_u32_e32 v8, v10, v8
	v_mov_b32_e32 v10, v17
	s_mov_b32 s2, 0xa2f9836e
	v_mad_u64_u32 v[10:11], s[2:3], v18, s2, v[10:11]
	v_cmp_lt_u32_e64 s[2:3], 31, v8
	v_cndmask_b32_e64 v17, 0, v19, s[2:3]
	v_add_u32_e32 v8, v17, v8
	v_cndmask_b32_e32 v17, v16, v14, vcc
	v_cndmask_b32_e32 v10, v10, v15, vcc
	;; [unrolled: 1-line block ×3, first 2 shown]
	v_cndmask_b32_e64 v18, v10, v17, s[0:1]
	v_cndmask_b32_e64 v10, v11, v10, s[0:1]
	v_cndmask_b32_e32 v11, v15, v13, vcc
	v_cndmask_b32_e64 v15, v17, v11, s[0:1]
	v_cndmask_b32_e64 v10, v10, v18, s[2:3]
	;; [unrolled: 1-line block ×3, first 2 shown]
	v_sub_u32_e32 v17, 32, v8
	v_alignbit_b32 v18, v10, v16, v17
	v_cmp_eq_u32_e64 s[6:7], 0, v8
	v_cndmask_b32_e64 v8, v18, v10, s[6:7]
	v_cndmask_b32_e32 v10, v14, v12, vcc
	v_cndmask_b32_e64 v11, v11, v10, s[0:1]
	v_cndmask_b32_e64 v12, v15, v11, s[2:3]
	v_alignbit_b32 v14, v16, v12, v17
	v_cndmask_b32_e32 v7, v13, v7, vcc
	v_cndmask_b32_e64 v14, v14, v16, s[6:7]
	v_bfe_u32 v18, v8, 29, 1
	v_cndmask_b32_e64 v7, v10, v7, s[0:1]
	v_alignbit_b32 v15, v8, v14, 30
	v_sub_u32_e32 v19, 0, v18
	v_cndmask_b32_e64 v7, v11, v7, s[2:3]
	v_xor_b32_e32 v15, v15, v19
	v_alignbit_b32 v10, v12, v7, v17
	v_cndmask_b32_e64 v10, v10, v12, s[6:7]
	v_ffbh_u32_e32 v12, v15
	v_alignbit_b32 v11, v14, v10, 30
	v_min_u32_e32 v12, 32, v12
	v_alignbit_b32 v7, v10, v7, 30
	v_xor_b32_e32 v11, v11, v19
	v_sub_u32_e32 v13, 31, v12
	v_xor_b32_e32 v7, v7, v19
	v_alignbit_b32 v14, v15, v11, v13
	v_alignbit_b32 v7, v11, v7, v13
	;; [unrolled: 1-line block ×3, first 2 shown]
	v_ffbh_u32_e32 v11, v10
	v_min_u32_e32 v11, 32, v11
	v_lshrrev_b32_e32 v16, 29, v8
	v_not_b32_e32 v13, v11
	v_alignbit_b32 v7, v10, v7, v13
	v_lshlrev_b32_e32 v10, 31, v16
	v_or_b32_e32 v13, 0x33000000, v10
	v_add_lshl_u32 v11, v11, v12, 23
	v_lshrrev_b32_e32 v7, 9, v7
	v_sub_u32_e32 v11, v13, v11
	v_or_b32_e32 v10, 0.5, v10
	v_lshlrev_b32_e32 v12, 23, v12
	v_or_b32_e32 v7, v11, v7
	v_lshrrev_b32_e32 v11, 9, v14
	v_sub_u32_e32 v10, v10, v12
	v_or_b32_e32 v10, v11, v10
	s_mov_b32 s0, 0x3fc90fda
	v_mul_f32_e32 v11, 0x3fc90fda, v10
	v_fma_f32 v12, v10, s0, -v11
	v_fmac_f32_e32 v12, 0x33a22168, v10
	v_fmac_f32_e32 v12, 0x3fc90fda, v7
	v_lshrrev_b32_e32 v8, 30, v8
	v_add_f32_e32 v7, v11, v12
	v_add_u32_e32 v8, v18, v8
	s_andn2_saveexec_b64 s[0:1], s[18:19]
	s_cbranch_execz .LBB33_15
	s_branch .LBB33_14
.LBB33_13:
	s_andn2_saveexec_b64 s[0:1], s[18:19]
	s_cbranch_execz .LBB33_15
.LBB33_14:
	s_mov_b32 s2, 0x3f22f983
	v_mul_f32_e64 v7, |v1|, s2
	v_rndne_f32_e32 v10, v7
	s_mov_b32 s2, 0xbfc90fda
	v_cvt_i32_f32_e32 v8, v10
	v_fma_f32 v7, v10, s2, |v1|
	v_fmac_f32_e32 v7, 0xb3a22168, v10
	v_fmac_f32_e32 v7, 0xa7c234c4, v10
.LBB33_15:
	s_or_b64 exec, exec, s[0:1]
                                        ; implicit-def: $vgpr11
                                        ; implicit-def: $vgpr10
	s_and_saveexec_b64 s[0:1], s[16:17]
	s_xor_b64 s[16:17], exec, s[0:1]
	s_cbranch_execz .LBB33_17
; %bb.16:
	v_and_b32_e32 v10, 0x7fffff, v6
	v_or_b32_e32 v19, 0x800000, v10
	s_mov_b32 s0, 0xfe5163ab
	v_mad_u64_u32 v[10:11], s[0:1], v19, s0, 0
	v_mov_b32_e32 v12, 0
	s_mov_b32 s0, 0x3c439041
	v_mad_u64_u32 v[13:14], s[0:1], v19, s0, v[11:12]
	s_mov_b32 s0, 0xdb629599
	v_add_u32_e32 v9, 0xffffff88, v9
	v_mov_b32_e32 v11, v14
	v_mad_u64_u32 v[14:15], s[0:1], v19, s0, v[11:12]
	s_mov_b32 s0, 0xf534ddc0
	v_not_b32_e32 v18, 63
	v_mov_b32_e32 v11, v15
	v_mad_u64_u32 v[15:16], s[0:1], v19, s0, v[11:12]
	s_mov_b32 s0, 0xfc2757d1
	v_cmp_lt_u32_e32 vcc, 63, v9
	v_mov_b32_e32 v11, v16
	v_mad_u64_u32 v[16:17], s[0:1], v19, s0, v[11:12]
	v_cndmask_b32_e32 v11, 0, v18, vcc
	v_add_u32_e32 v9, v11, v9
	v_mov_b32_e32 v11, v17
	s_mov_b32 s0, 0x4e441529
	v_mad_u64_u32 v[17:18], s[0:1], v19, s0, v[11:12]
	v_not_b32_e32 v20, 31
	v_cmp_lt_u32_e64 s[0:1], 31, v9
	v_cndmask_b32_e64 v11, 0, v20, s[0:1]
	v_add_u32_e32 v9, v11, v9
	v_mov_b32_e32 v11, v18
	s_mov_b32 s2, 0xa2f9836e
	v_mad_u64_u32 v[11:12], s[2:3], v19, s2, v[11:12]
	v_cmp_lt_u32_e64 s[2:3], 31, v9
	v_cndmask_b32_e64 v18, 0, v20, s[2:3]
	v_add_u32_e32 v9, v18, v9
	v_cndmask_b32_e32 v18, v17, v15, vcc
	v_cndmask_b32_e32 v11, v11, v16, vcc
	;; [unrolled: 1-line block ×3, first 2 shown]
	v_cndmask_b32_e64 v19, v11, v18, s[0:1]
	v_cndmask_b32_e64 v11, v12, v11, s[0:1]
	v_cndmask_b32_e32 v12, v16, v14, vcc
	v_cndmask_b32_e64 v16, v18, v12, s[0:1]
	v_cndmask_b32_e64 v11, v11, v19, s[2:3]
	;; [unrolled: 1-line block ×3, first 2 shown]
	v_sub_u32_e32 v18, 32, v9
	v_alignbit_b32 v19, v11, v17, v18
	v_cmp_eq_u32_e64 s[6:7], 0, v9
	v_cndmask_b32_e64 v9, v19, v11, s[6:7]
	v_cndmask_b32_e32 v11, v15, v13, vcc
	v_cndmask_b32_e64 v12, v12, v11, s[0:1]
	v_cndmask_b32_e64 v13, v16, v12, s[2:3]
	v_alignbit_b32 v15, v17, v13, v18
	v_cndmask_b32_e32 v10, v14, v10, vcc
	v_cndmask_b32_e64 v15, v15, v17, s[6:7]
	v_bfe_u32 v19, v9, 29, 1
	v_cndmask_b32_e64 v10, v11, v10, s[0:1]
	v_alignbit_b32 v16, v9, v15, 30
	v_sub_u32_e32 v20, 0, v19
	v_cndmask_b32_e64 v10, v12, v10, s[2:3]
	v_xor_b32_e32 v16, v16, v20
	v_alignbit_b32 v11, v13, v10, v18
	v_cndmask_b32_e64 v11, v11, v13, s[6:7]
	v_ffbh_u32_e32 v13, v16
	v_alignbit_b32 v12, v15, v11, 30
	v_min_u32_e32 v13, 32, v13
	v_alignbit_b32 v10, v11, v10, 30
	v_xor_b32_e32 v12, v12, v20
	v_sub_u32_e32 v14, 31, v13
	v_xor_b32_e32 v10, v10, v20
	v_alignbit_b32 v15, v16, v12, v14
	v_alignbit_b32 v10, v12, v10, v14
	;; [unrolled: 1-line block ×3, first 2 shown]
	v_ffbh_u32_e32 v12, v11
	v_min_u32_e32 v12, 32, v12
	v_lshrrev_b32_e32 v17, 29, v9
	v_not_b32_e32 v14, v12
	v_alignbit_b32 v10, v11, v10, v14
	v_lshlrev_b32_e32 v11, 31, v17
	v_or_b32_e32 v14, 0x33000000, v11
	v_add_lshl_u32 v12, v12, v13, 23
	v_lshrrev_b32_e32 v10, 9, v10
	v_sub_u32_e32 v12, v14, v12
	v_or_b32_e32 v11, 0.5, v11
	v_lshlrev_b32_e32 v13, 23, v13
	v_or_b32_e32 v10, v12, v10
	v_lshrrev_b32_e32 v12, 9, v15
	v_sub_u32_e32 v11, v11, v13
	v_or_b32_e32 v11, v12, v11
	s_mov_b32 s0, 0x3fc90fda
	v_mul_f32_e32 v12, 0x3fc90fda, v11
	v_fma_f32 v13, v11, s0, -v12
	v_fmac_f32_e32 v13, 0x33a22168, v11
	v_fmac_f32_e32 v13, 0x3fc90fda, v10
	v_lshrrev_b32_e32 v9, 30, v9
	v_add_f32_e32 v10, v12, v13
	v_add_u32_e32 v11, v19, v9
	s_andn2_saveexec_b64 s[0:1], s[16:17]
	s_cbranch_execnz .LBB33_18
	s_branch .LBB33_19
.LBB33_17:
	s_andn2_saveexec_b64 s[0:1], s[16:17]
	s_cbranch_execz .LBB33_19
.LBB33_18:
	s_mov_b32 s2, 0x3f22f983
	v_mul_f32_e64 v9, |v1|, s2
	v_rndne_f32_e32 v9, v9
	s_mov_b32 s2, 0xbfc90fda
	v_cvt_i32_f32_e32 v11, v9
	v_fma_f32 v10, v9, s2, |v1|
	v_fmac_f32_e32 v10, 0xb3a22168, v9
	v_fmac_f32_e32 v10, 0xa7c234c4, v9
.LBB33_19:
	s_or_b64 exec, exec, s[0:1]
	v_mul_lo_u32 v9, v4, s9
	v_mul_lo_u32 v14, v4, s12
	s_load_dwordx4 s[0:3], s[4:5], 0x0
	v_mad_u64_u32 v[12:13], s[4:5], v3, s13, v[0:1]
	v_sub_u32_e32 v5, v5, v9
	v_mul_lo_u32 v9, v5, s11
	s_waitcnt lgkmcnt(0)
	v_mov_b32_e32 v15, s1
	s_ashr_i32 s1, s21, 31
	v_mov_b32_e32 v18, 0x3c0881c4
	v_add3_u32 v12, v12, v14, v9
	v_ashrrev_i32_e32 v13, 31, v12
	v_lshlrev_b64 v[12:13], 1, v[12:13]
	v_mov_b32_e32 v19, 0xbe2aaa9d
	v_add_co_u32_e32 v12, vcc, s0, v12
	s_mov_b32 s0, s21
	v_addc_co_u32_e32 v13, vcc, v15, v13, vcc
	s_lshl_b64 s[0:1], s[0:1], 1
	v_mov_b32_e32 v9, s1
	v_add_co_u32_e32 v14, vcc, s0, v12
	v_addc_co_u32_e32 v15, vcc, v13, v9, vcc
	global_load_ushort v16, v[12:13], off
	global_load_ushort v17, v[14:15], off
	v_mul_f32_e32 v14, v7, v7
	v_mov_b32_e32 v15, 0x3c0881c4
	v_mad_u64_u32 v[12:13], s[4:5], v3, s20, v[0:1]
	v_mul_f32_e32 v0, v10, v10
	v_fmac_f32_e32 v18, 0xb94c1982, v14
	v_fmac_f32_e32 v15, 0xb94c1982, v0
	v_fma_f32 v3, v14, v18, v19
	v_mov_b32_e32 v13, 0xbab64f3b
	v_lshlrev_b32_e32 v18, 30, v11
	v_mov_b32_e32 v20, 0xbab64f3b
	v_fmac_f32_e32 v19, v0, v15
	v_fmac_f32_e32 v13, 0x37d75334, v14
	v_mov_b32_e32 v15, 0x3d2aabf7
	v_xor_b32_e32 v6, v6, v1
	v_and_b32_e32 v18, 0x80000000, v18
	v_fmac_f32_e32 v20, 0x37d75334, v0
	v_fma_f32 v13, v14, v13, v15
	v_xor_b32_e32 v6, v6, v18
	v_mov_b32_e32 v18, 0xbf000004
	v_mul_f32_e32 v3, v14, v3
	v_fmac_f32_e32 v15, v0, v20
	v_fma_f32 v13, v14, v13, v18
	v_fmac_f32_e32 v7, v7, v3
	v_and_b32_e32 v3, 1, v8
	v_fmac_f32_e32 v18, v0, v15
	v_fma_f32 v13, v14, v13, 1.0
	v_and_b32_e32 v11, 1, v11
	v_mul_f32_e32 v15, v0, v19
	v_cmp_eq_u32_e32 vcc, 0, v3
	v_mul_lo_u32 v4, v4, s15
	v_fmac_f32_e32 v10, v10, v15
	v_fma_f32 v0, v0, v18, 1.0
	v_cndmask_b32_e64 v3, -v7, v13, vcc
	v_mul_lo_u32 v5, v5, s14
	v_cmp_eq_u32_e32 vcc, 0, v11
	v_lshlrev_b32_e32 v8, 30, v8
	s_movk_i32 s1, 0x1f8
	v_cndmask_b32_e32 v0, v0, v10, vcc
	v_mov_b32_e32 v14, 0x7fc00000
	v_and_b32_e32 v8, 0x80000000, v8
	v_xor_b32_e32 v0, v6, v0
	v_cmp_class_f32_e64 vcc, v1, s1
	v_xor_b32_e32 v3, v8, v3
	v_cndmask_b32_e32 v0, v14, v0, vcc
	v_cndmask_b32_e32 v1, v14, v3, vcc
	v_mul_f32_e64 v8, v0, -v2
	v_add3_u32 v0, v12, v4, v5
	v_mul_f32_e32 v6, v2, v1
	v_ashrrev_i32_e32 v1, 31, v0
	v_lshlrev_b64 v[0:1], 1, v[0:1]
	v_mov_b32_e32 v7, s3
	v_add_co_u32_e32 v0, vcc, s2, v0
	v_addc_co_u32_e32 v1, vcc, v7, v1, vcc
	v_add_co_u32_e32 v2, vcc, s0, v0
	v_addc_co_u32_e32 v3, vcc, v1, v9, vcc
	s_waitcnt vmcnt(1)
	v_cvt_f32_f16_e32 v4, v16
	s_waitcnt vmcnt(0)
	v_cvt_f32_f16_e32 v5, v17
	v_mul_f32_e32 v4, v8, v4
	v_mul_f32_e32 v5, v8, v5
	v_fma_mixlo_f16 v5, v6, v16, -v5 op_sel_hi:[0,1,0]
	v_fma_mixlo_f16 v4, v6, v17, v4 op_sel_hi:[0,1,0]
	global_store_short v[0:1], v5, off
	global_store_short v[2:3], v4, off
.LBB33_20:
	s_endpgm
	.section	.rodata,"a",@progbits
	.p2align	6, 0x0
	.amdhsa_kernel _ZL11rope_visionILb0ELb1E6__halfEvPKT1_PS1_iiiiiiiiiiPKifff14rope_corr_dimsfPKf14mrope_sections
		.amdhsa_group_segment_fixed_size 0
		.amdhsa_private_segment_fixed_size 0
		.amdhsa_kernarg_size 368
		.amdhsa_user_sgpr_count 6
		.amdhsa_user_sgpr_private_segment_buffer 1
		.amdhsa_user_sgpr_dispatch_ptr 0
		.amdhsa_user_sgpr_queue_ptr 0
		.amdhsa_user_sgpr_kernarg_segment_ptr 1
		.amdhsa_user_sgpr_dispatch_id 0
		.amdhsa_user_sgpr_flat_scratch_init 0
		.amdhsa_user_sgpr_private_segment_size 0
		.amdhsa_uses_dynamic_stack 0
		.amdhsa_system_sgpr_private_segment_wavefront_offset 0
		.amdhsa_system_sgpr_workgroup_id_x 1
		.amdhsa_system_sgpr_workgroup_id_y 1
		.amdhsa_system_sgpr_workgroup_id_z 0
		.amdhsa_system_sgpr_workgroup_info 0
		.amdhsa_system_vgpr_workitem_id 1
		.amdhsa_next_free_vgpr 21
		.amdhsa_next_free_sgpr 26
		.amdhsa_reserve_vcc 1
		.amdhsa_reserve_flat_scratch 0
		.amdhsa_float_round_mode_32 0
		.amdhsa_float_round_mode_16_64 0
		.amdhsa_float_denorm_mode_32 3
		.amdhsa_float_denorm_mode_16_64 3
		.amdhsa_dx10_clamp 1
		.amdhsa_ieee_mode 1
		.amdhsa_fp16_overflow 0
		.amdhsa_exception_fp_ieee_invalid_op 0
		.amdhsa_exception_fp_denorm_src 0
		.amdhsa_exception_fp_ieee_div_zero 0
		.amdhsa_exception_fp_ieee_overflow 0
		.amdhsa_exception_fp_ieee_underflow 0
		.amdhsa_exception_fp_ieee_inexact 0
		.amdhsa_exception_int_div_zero 0
	.end_amdhsa_kernel
	.section	.text._ZL11rope_visionILb0ELb1E6__halfEvPKT1_PS1_iiiiiiiiiiPKifff14rope_corr_dimsfPKf14mrope_sections,"axG",@progbits,_ZL11rope_visionILb0ELb1E6__halfEvPKT1_PS1_iiiiiiiiiiPKifff14rope_corr_dimsfPKf14mrope_sections,comdat
.Lfunc_end33:
	.size	_ZL11rope_visionILb0ELb1E6__halfEvPKT1_PS1_iiiiiiiiiiPKifff14rope_corr_dimsfPKf14mrope_sections, .Lfunc_end33-_ZL11rope_visionILb0ELb1E6__halfEvPKT1_PS1_iiiiiiiiiiPKifff14rope_corr_dimsfPKf14mrope_sections
                                        ; -- End function
	.set _ZL11rope_visionILb0ELb1E6__halfEvPKT1_PS1_iiiiiiiiiiPKifff14rope_corr_dimsfPKf14mrope_sections.num_vgpr, 21
	.set _ZL11rope_visionILb0ELb1E6__halfEvPKT1_PS1_iiiiiiiiiiPKifff14rope_corr_dimsfPKf14mrope_sections.num_agpr, 0
	.set _ZL11rope_visionILb0ELb1E6__halfEvPKT1_PS1_iiiiiiiiiiPKifff14rope_corr_dimsfPKf14mrope_sections.numbered_sgpr, 26
	.set _ZL11rope_visionILb0ELb1E6__halfEvPKT1_PS1_iiiiiiiiiiPKifff14rope_corr_dimsfPKf14mrope_sections.num_named_barrier, 0
	.set _ZL11rope_visionILb0ELb1E6__halfEvPKT1_PS1_iiiiiiiiiiPKifff14rope_corr_dimsfPKf14mrope_sections.private_seg_size, 0
	.set _ZL11rope_visionILb0ELb1E6__halfEvPKT1_PS1_iiiiiiiiiiPKifff14rope_corr_dimsfPKf14mrope_sections.uses_vcc, 1
	.set _ZL11rope_visionILb0ELb1E6__halfEvPKT1_PS1_iiiiiiiiiiPKifff14rope_corr_dimsfPKf14mrope_sections.uses_flat_scratch, 0
	.set _ZL11rope_visionILb0ELb1E6__halfEvPKT1_PS1_iiiiiiiiiiPKifff14rope_corr_dimsfPKf14mrope_sections.has_dyn_sized_stack, 0
	.set _ZL11rope_visionILb0ELb1E6__halfEvPKT1_PS1_iiiiiiiiiiPKifff14rope_corr_dimsfPKf14mrope_sections.has_recursion, 0
	.set _ZL11rope_visionILb0ELb1E6__halfEvPKT1_PS1_iiiiiiiiiiPKifff14rope_corr_dimsfPKf14mrope_sections.has_indirect_call, 0
	.section	.AMDGPU.csdata,"",@progbits
; Kernel info:
; codeLenInByte = 3856
; TotalNumSgprs: 30
; NumVgprs: 21
; ScratchSize: 0
; MemoryBound: 0
; FloatMode: 240
; IeeeMode: 1
; LDSByteSize: 0 bytes/workgroup (compile time only)
; SGPRBlocks: 3
; VGPRBlocks: 5
; NumSGPRsForWavesPerEU: 30
; NumVGPRsForWavesPerEU: 21
; Occupancy: 10
; WaveLimiterHint : 0
; COMPUTE_PGM_RSRC2:SCRATCH_EN: 0
; COMPUTE_PGM_RSRC2:USER_SGPR: 6
; COMPUTE_PGM_RSRC2:TRAP_HANDLER: 0
; COMPUTE_PGM_RSRC2:TGID_X_EN: 1
; COMPUTE_PGM_RSRC2:TGID_Y_EN: 1
; COMPUTE_PGM_RSRC2:TGID_Z_EN: 0
; COMPUTE_PGM_RSRC2:TIDIG_COMP_CNT: 1
	.section	.text._ZL9rope_normILb0ELb0EffEvPKT1_PT2_iiiiiiiiiiPKifff14rope_corr_dimsfPKfPKli,"axG",@progbits,_ZL9rope_normILb0ELb0EffEvPKT1_PT2_iiiiiiiiiiPKifff14rope_corr_dimsfPKfPKli,comdat
	.globl	_ZL9rope_normILb0ELb0EffEvPKT1_PT2_iiiiiiiiiiPKifff14rope_corr_dimsfPKfPKli ; -- Begin function _ZL9rope_normILb0ELb0EffEvPKT1_PT2_iiiiiiiiiiPKifff14rope_corr_dimsfPKfPKli
	.p2align	8
	.type	_ZL9rope_normILb0ELb0EffEvPKT1_PT2_iiiiiiiiiiPKifff14rope_corr_dimsfPKfPKli,@function
_ZL9rope_normILb0ELb0EffEvPKT1_PT2_iiiiiiiiiiPKifff14rope_corr_dimsfPKfPKli: ; @_ZL9rope_normILb0ELb0EffEvPKT1_PT2_iiiiiiiiiiPKifff14rope_corr_dimsfPKfPKli
; %bb.0:
	s_load_dword s2, s[4:5], 0x7c
	s_load_dwordx8 s[8:15], s[4:5], 0x10
	s_add_u32 s0, s4, 0x70
	s_addc_u32 s1, s5, 0
	s_waitcnt lgkmcnt(0)
	s_lshr_b32 s2, s2, 16
	s_mul_i32 s7, s7, s2
	v_add_lshl_u32 v4, s7, v1, 1
	v_cmp_gt_i32_e32 vcc, s8, v4
	s_and_saveexec_b64 s[2:3], vcc
	s_cbranch_execz .LBB34_19
; %bb.1:
	s_mul_i32 s2, s10, s9
	s_abs_i32 s3, s2
	v_cvt_f32_u32_e32 v1, s3
	s_load_dword s0, s[0:1], 0xc
	s_sub_i32 s1, 0, s3
	v_cvt_f32_u32_e32 v2, s9
	v_rcp_iflag_f32_e32 v1, v1
	s_waitcnt lgkmcnt(0)
	s_and_b32 s0, s0, 0xffff
	v_rcp_iflag_f32_e32 v2, v2
	v_mul_f32_e32 v1, 0x4f7ffffe, v1
	v_cvt_u32_f32_e32 v1, v1
	s_mul_i32 s6, s6, s0
	v_add_u32_e32 v0, s6, v0
	v_sub_u32_e32 v5, 0, v0
	v_mul_lo_u32 v3, s1, v1
	v_max_i32_e32 v5, v0, v5
	v_mul_f32_e32 v2, 0x4f7ffffe, v2
	v_cvt_u32_f32_e32 v6, v2
	v_mul_hi_u32 v3, v1, v3
	s_sub_i32 s0, 0, s9
	v_mul_lo_u32 v2, s0, v6
	v_add_u32_e32 v1, v1, v3
	v_mul_hi_u32 v1, v5, v1
	v_xor_b32_e32 v3, s2, v0
	v_mul_hi_u32 v8, v6, v2
	v_ashrrev_i32_e32 v3, 31, v3
	v_mul_lo_u32 v7, v1, s3
	v_add_u32_e32 v2, 1, v1
	s_load_dwordx2 s[0:1], s[4:5], 0x30
	v_sub_u32_e32 v5, v5, v7
	v_cmp_le_u32_e32 vcc, s3, v5
	v_cndmask_b32_e32 v1, v1, v2, vcc
	v_subrev_u32_e32 v2, s3, v5
	v_cndmask_b32_e32 v2, v5, v2, vcc
	v_add_u32_e32 v5, 1, v1
	v_cmp_le_u32_e32 vcc, s3, v2
	v_cndmask_b32_e32 v1, v1, v5, vcc
	v_xor_b32_e32 v1, v1, v3
	v_sub_u32_e32 v2, v1, v3
	v_mul_lo_u32 v1, s2, v2
	v_add_u32_e32 v5, v6, v8
	s_load_dword s2, s[4:5], 0x68
	v_sub_u32_e32 v3, v0, v1
	v_mul_hi_u32 v0, v3, v5
	s_waitcnt lgkmcnt(0)
	s_cmp_eq_u32 s2, 0
	v_mul_lo_u32 v1, v0, s9
	v_add_u32_e32 v5, 1, v0
	v_sub_u32_e32 v1, v3, v1
	v_cmp_le_u32_e32 vcc, s9, v1
	v_cndmask_b32_e32 v0, v0, v5, vcc
	v_subrev_u32_e32 v5, s9, v1
	v_cndmask_b32_e32 v1, v1, v5, vcc
	v_add_u32_e32 v5, 1, v0
	v_cmp_le_u32_e32 vcc, s9, v1
	v_cndmask_b32_e32 v5, v0, v5, vcc
	s_cbranch_scc1 .LBB34_3
; %bb.2:
	s_load_dwordx2 s[6:7], s[4:5], 0x60
	v_mov_b32_e32 v6, 0
	v_lshlrev_b64 v[0:1], 3, v[5:6]
	s_waitcnt lgkmcnt(0)
	v_mov_b32_e32 v6, s7
	v_add_co_u32_e32 v0, vcc, s6, v0
	v_addc_co_u32_e32 v1, vcc, v6, v1, vcc
	global_load_dword v0, v[0:1], off
	s_waitcnt vmcnt(0)
	v_mul_lo_u32 v0, s2, v0
	s_branch .LBB34_4
.LBB34_3:
	v_mul_lo_u32 v0, v2, s0
	v_mad_u64_u32 v[0:1], s[2:3], v5, s15, v[0:1]
.LBB34_4:
	v_mul_lo_u32 v6, v5, s9
	v_mad_u64_u32 v[1:2], s[2:3], v2, s13, v[4:5]
	v_mul_lo_u32 v7, v5, s12
	v_sub_u32_e32 v2, v3, v6
	v_mul_lo_u32 v3, v2, s11
	v_mul_lo_u32 v6, v2, s14
	s_load_dwordx4 s[8:11], s[4:5], 0x0
	v_cmp_le_i32_e32 vcc, s1, v4
	v_add3_u32 v2, v1, v7, v3
	v_add3_u32 v0, v6, v4, v0
	v_ashrrev_i32_e32 v3, 31, v2
	v_ashrrev_i32_e32 v1, 31, v0
	s_and_saveexec_b64 s[0:1], vcc
	s_xor_b64 s[0:1], exec, s[0:1]
	s_cbranch_execz .LBB34_6
; %bb.5:
	v_lshlrev_b64 v[2:3], 2, v[2:3]
	s_waitcnt lgkmcnt(0)
	v_mov_b32_e32 v4, s9
	v_add_co_u32_e32 v2, vcc, s8, v2
	v_addc_co_u32_e32 v3, vcc, v4, v3, vcc
	global_load_dwordx2 v[2:3], v[2:3], off
	v_lshlrev_b64 v[0:1], 2, v[0:1]
	v_mov_b32_e32 v4, s11
	v_add_co_u32_e32 v0, vcc, s10, v0
	v_addc_co_u32_e32 v1, vcc, v4, v1, vcc
                                        ; implicit-def: $vgpr5
                                        ; implicit-def: $vgpr4
	s_waitcnt vmcnt(0)
	global_store_dwordx2 v[0:1], v[2:3], off
                                        ; implicit-def: $vgpr2
                                        ; implicit-def: $vgpr0
.LBB34_6:
	s_andn2_saveexec_b64 s[0:1], s[0:1]
	s_cbranch_execz .LBB34_19
; %bb.7:
	s_load_dwordx2 s[0:1], s[4:5], 0x38
	v_mov_b32_e32 v6, 0
	v_lshlrev_b64 v[5:6], 2, v[5:6]
	v_mov_b32_e32 v10, 0x3e91f4c4
	v_mov_b32_e32 v11, 0x3ecccdef
	s_waitcnt lgkmcnt(0)
	v_mov_b32_e32 v7, s1
	v_add_co_u32_e32 v5, vcc, s0, v5
	v_addc_co_u32_e32 v6, vcc, v7, v6, vcc
	global_load_dword v7, v[5:6], off
	s_load_dwordx4 s[12:15], s[4:5], 0x40
	s_load_dwordx2 s[6:7], s[4:5], 0x50
	v_cvt_f32_i32_e32 v5, v4
	s_mov_b32 s0, 0x3f2aaaab
	s_mov_b32 s1, 0x3f317218
	s_movk_i32 s5, 0x204
	v_mul_f32_e32 v5, 0.5, v5
	s_waitcnt lgkmcnt(0)
	v_cmp_neq_f32_e64 vcc, s7, 1.0
	v_cndmask_b32_e32 v6, 1.0, v5, vcc
	v_mov_b32_e32 v5, s7
	v_cmp_neq_f32_e32 vcc, 0, v6
	v_cndmask_b32_e32 v5, 1.0, v5, vcc
	v_frexp_mant_f32_e64 v12, |v5|
	v_cmp_gt_f32_e32 vcc, s0, v12
	v_cndmask_b32_e64 v13, 1.0, 2.0, vcc
	v_mul_f32_e32 v12, v12, v13
	v_add_f32_e32 v14, 1.0, v12
	v_cvt_f64_f32_e64 v[8:9], |v5|
	v_rcp_f32_e32 v15, v14
	v_add_f32_e32 v13, -1.0, v12
	v_add_f32_e32 v16, -1.0, v14
	v_frexp_exp_i32_f64_e32 v8, v[8:9]
	v_sub_f32_e32 v9, v12, v16
	v_mul_f32_e32 v12, v13, v15
	v_mul_f32_e32 v16, v14, v12
	v_fma_f32 v14, v12, v14, -v16
	v_fmac_f32_e32 v14, v12, v9
	v_add_f32_e32 v9, v16, v14
	v_sub_f32_e32 v17, v13, v9
	v_sub_f32_e32 v16, v9, v16
	;; [unrolled: 1-line block ×5, first 2 shown]
	v_add_f32_e32 v9, v14, v9
	v_add_f32_e32 v9, v17, v9
	v_mul_f32_e32 v9, v15, v9
	v_add_f32_e32 v14, v12, v9
	v_sub_f32_e32 v12, v14, v12
	v_mul_f32_e32 v15, v14, v14
	v_sub_f32_e32 v9, v9, v12
	v_fma_f32 v12, v14, v14, -v15
	v_add_f32_e32 v16, v9, v9
	v_fmac_f32_e32 v12, v14, v16
	v_add_f32_e32 v16, v15, v12
	v_fmac_f32_e32 v10, 0x3e76c4e1, v16
	v_sub_f32_e32 v15, v16, v15
	v_mul_f32_e32 v17, v14, v16
	v_fmac_f32_e32 v11, v16, v10
	v_sub_f32_e32 v10, v12, v15
	v_fma_f32 v12, v16, v14, -v17
	v_fmac_f32_e32 v12, v16, v9
	v_mul_f32_e32 v15, v16, v11
	v_fmac_f32_e32 v12, v10, v14
	v_fma_f32 v16, v16, v11, -v15
	v_add_f32_e32 v18, v17, v12
	v_fmac_f32_e32 v16, v10, v11
	v_sub_f32_e32 v10, v18, v17
	v_add_f32_e32 v11, v15, v16
	v_sub_f32_e32 v10, v12, v10
	v_add_f32_e32 v12, 0x3f2aaaaa, v11
	v_sub_f32_e32 v15, v11, v15
	v_sub_f32_e32 v15, v16, v15
	v_add_f32_e32 v16, 0xbf2aaaaa, v12
	v_subbrev_co_u32_e32 v8, vcc, 0, v8, vcc
	v_add_f32_e32 v15, 0x31739010, v15
	v_sub_f32_e32 v11, v11, v16
	v_cvt_f32_i32_e32 v8, v8
	v_add_f32_e32 v11, v15, v11
	v_add_f32_e32 v15, v12, v11
	v_sub_f32_e32 v12, v12, v15
	v_mul_f32_e32 v16, v18, v15
	v_add_f32_e32 v11, v11, v12
	v_fma_f32 v12, v18, v15, -v16
	v_mul_f32_e32 v13, 0x3f317218, v8
	v_fmac_f32_e32 v12, v18, v11
	v_fmac_f32_e32 v12, v10, v15
	v_fma_f32 v10, v8, s1, -v13
	v_fmac_f32_e32 v10, 0xb102e308, v8
	v_add_f32_e32 v11, v13, v10
	v_sub_f32_e32 v13, v11, v13
	v_sub_f32_e32 v10, v10, v13
	v_add_f32_e32 v13, v16, v12
	v_ldexp_f32 v8, v9, 1
	v_ldexp_f32 v9, v14, 1
	v_sub_f32_e32 v14, v13, v16
	v_sub_f32_e32 v12, v12, v14
	v_add_f32_e32 v14, v9, v13
	v_sub_f32_e32 v9, v14, v9
	v_sub_f32_e32 v9, v13, v9
	v_add_f32_e32 v8, v8, v12
	v_add_f32_e32 v8, v8, v9
	;; [unrolled: 1-line block ×3, first 2 shown]
	v_sub_f32_e32 v12, v9, v14
	v_sub_f32_e32 v8, v8, v12
	v_add_f32_e32 v12, v11, v9
	v_sub_f32_e32 v13, v12, v11
	v_sub_f32_e32 v14, v12, v13
	;; [unrolled: 1-line block ×4, first 2 shown]
	v_add_f32_e32 v9, v9, v11
	v_add_f32_e32 v11, v10, v8
	v_sub_f32_e32 v13, v11, v10
	v_sub_f32_e32 v14, v11, v13
	;; [unrolled: 1-line block ×4, first 2 shown]
	v_add_f32_e32 v9, v11, v9
	v_add_f32_e32 v8, v8, v10
	;; [unrolled: 1-line block ×3, first 2 shown]
	v_sub_f32_e32 v11, v10, v12
	v_sub_f32_e32 v9, v9, v11
	v_add_f32_e32 v8, v8, v9
	v_add_f32_e32 v9, v10, v8
	v_sub_f32_e32 v10, v9, v10
	v_sub_f32_e32 v8, v8, v10
	v_mul_f32_e32 v10, v6, v9
	v_fma_f32 v9, v6, v9, -v10
	v_fmac_f32_e32 v9, v6, v8
	v_add_f32_e32 v8, v10, v9
	v_cmp_class_f32_e64 vcc, v10, s5
	v_sub_f32_e32 v11, v8, v10
	v_cndmask_b32_e32 v8, v8, v10, vcc
	s_mov_b32 s0, 0x42b17218
	v_mov_b32_e32 v10, 0x37000000
	v_cmp_eq_f32_e32 vcc, s0, v8
	v_cndmask_b32_e32 v10, 0, v10, vcc
	v_sub_f32_e32 v9, v9, v11
	v_sub_f32_e32 v11, v8, v10
	s_mov_b32 s1, 0x3fb8aa3b
	v_mul_f32_e32 v12, 0x3fb8aa3b, v11
	v_fma_f32 v13, v11, s1, -v12
	v_rndne_f32_e32 v14, v12
	v_fmac_f32_e32 v13, 0x32a5705f, v11
	v_sub_f32_e32 v12, v12, v14
	v_add_f32_e32 v12, v12, v13
	v_exp_f32_e32 v12, v12
	v_cvt_i32_f32_e32 v13, v14
	s_mov_b32 s4, 0x7f800000
	v_cmp_neq_f32_e64 vcc, |v8|, s4
	s_mov_b32 s1, 0xc2ce8ed0
	v_cndmask_b32_e32 v8, 0, v9, vcc
	v_ldexp_f32 v9, v12, v13
	v_cmp_ngt_f32_e32 vcc, s1, v11
	v_add_f32_e32 v8, v10, v8
	v_cndmask_b32_e32 v9, 0, v9, vcc
	v_mov_b32_e32 v10, 0x7f800000
	v_cmp_nlt_f32_e32 vcc, s0, v11
	v_cndmask_b32_e32 v9, v10, v9, vcc
	v_fma_f32 v8, v9, v8, v9
	v_cmp_class_f32_e64 vcc, v9, s5
	v_cndmask_b32_e32 v8, v8, v9, vcc
	v_trunc_f32_e32 v9, v6
	v_cmp_eq_f32_e32 vcc, v9, v6
	v_mul_f32_e32 v9, 0.5, v6
	v_trunc_f32_e32 v12, v9
	v_cmp_neq_f32_e64 s[0:1], v12, v9
	s_and_b64 s[0:1], vcc, s[0:1]
	v_cndmask_b32_e64 v9, 1.0, v5, s[0:1]
	s_brev_b32 s7, -2
	v_mov_b32_e32 v11, 0x7fc00000
	v_bfi_b32 v8, s7, v8, v9
	v_cmp_neq_f32_e64 s[2:3], v6, |v6|
	v_cmp_lt_f32_e64 s[16:17], |v5|, 1.0
	v_cndmask_b32_e32 v9, v11, v8, vcc
	v_cmp_gt_f32_e32 vcc, 0, v5
	s_xor_b64 s[2:3], s[2:3], s[16:17]
	v_cndmask_b32_e32 v8, v8, v9, vcc
	v_cndmask_b32_e64 v9, v10, 0, s[2:3]
	v_cmp_neq_f32_e64 vcc, |v5|, 1.0
	v_cndmask_b32_e32 v9, 1.0, v9, vcc
	v_cmp_class_f32_e64 vcc, v6, s5
	v_cndmask_b32_e32 v8, v8, v9, vcc
	v_cmp_eq_f32_e32 vcc, 0, v5
	v_cmp_gt_f32_e64 s[2:3], 0, v6
	s_xor_b64 s[2:3], s[2:3], vcc
	s_waitcnt vmcnt(0)
	v_cvt_f32_i32_e32 v7, v7
	v_cmp_class_f32_e64 s[16:17], v5, s5
	v_cndmask_b32_e64 v6, v10, 0, s[2:3]
	v_cndmask_b32_e64 v9, 0, v5, s[0:1]
	v_bfi_b32 v6, s7, v6, v9
	s_or_b64 vcc, vcc, s[16:17]
	v_cndmask_b32_e32 v6, v8, v6, vcc
	v_cmp_o_f32_e32 vcc, v5, v5
	v_cndmask_b32_e32 v5, v11, v6, vcc
	v_mul_f32_e32 v7, v5, v7
	v_cmp_eq_f32_e64 s[0:1], s13, 0
	v_mul_f32_e32 v5, s12, v7
	s_and_b64 vcc, exec, s[0:1]
	s_cbranch_vccnz .LBB34_9
; %bb.8:
	v_ashrrev_i32_e32 v4, 1, v4
	v_cvt_f32_i32_e32 v4, v4
	v_div_scale_f32 v8, s[0:1], s12, s12, 1.0
	v_mov_b32_e32 v6, s15
	v_sub_f32_e32 v6, s6, v6
	v_subrev_f32_e32 v4, s15, v4
	v_max_f32_e32 v6, 0x3a83126f, v6
	v_div_scale_f32 v9, s[0:1], v6, v6, v4
	v_div_scale_f32 v10, s[0:1], 1.0, s12, 1.0
	v_div_scale_f32 v11, vcc, v4, v6, v4
	s_mov_b32 s2, 0x3f317217
	v_rcp_f32_e32 v12, v8
	v_fma_f32 v13, -v8, v12, 1.0
	v_fmac_f32_e32 v12, v13, v12
	v_rcp_f32_e32 v13, v9
	v_mul_f32_e32 v14, v10, v12
	v_fma_f32 v15, -v8, v14, v10
	v_fmac_f32_e32 v14, v15, v12
	v_fma_f32 v8, -v8, v14, v10
	v_fma_f32 v10, -v9, v13, 1.0
	v_fmac_f32_e32 v13, v10, v13
	v_mul_f32_e32 v10, v11, v13
	v_fma_f32 v15, -v9, v10, v11
	v_fmac_f32_e32 v10, v15, v13
	v_fma_f32 v9, -v9, v10, v11
	v_div_fmas_f32 v9, v9, v13, v10
	s_mov_b64 vcc, s[0:1]
	v_div_fmas_f32 v8, v8, v12, v14
	s_mov_b32 s0, 0x800000
	v_mov_b32_e32 v10, 0x41b17218
	v_div_fixup_f32 v4, v9, v6, v4 clamp
	v_sub_f32_e32 v4, 1.0, v4
	v_div_fixup_f32 v6, v8, s12, 1.0
	v_cmp_gt_f32_e32 vcc, s0, v6
	s_and_b64 s[0:1], vcc, exec
	s_cselect_b32 s0, 32, 0
	v_ldexp_f32 v6, v6, s0
	v_log_f32_e32 v6, v6
	v_mul_f32_e32 v8, s13, v4
	v_fma_f32 v4, -s13, v4, 1.0
	v_mul_f32_e32 v5, v4, v5
	v_mul_f32_e32 v4, 0x3f317217, v6
	v_fma_f32 v4, v6, s2, -v4
	v_fmac_f32_e32 v4, 0x3377d1cf, v6
	v_cndmask_b32_e32 v9, 0, v10, vcc
	v_fmac_f32_e32 v4, 0x3f317217, v6
	v_cmp_lt_f32_e64 vcc, |v6|, s4
	v_cndmask_b32_e32 v4, v6, v4, vcc
	v_sub_f32_e32 v4, v4, v9
	s_mov_b32 s0, 0x3dcccccd
	v_fma_f32 v4, v4, s0, 1.0
	v_fmac_f32_e32 v5, v8, v7
	v_mul_f32_e32 v6, s14, v4
	s_branch .LBB34_10
.LBB34_9:
	v_mov_b32_e32 v6, s14
.LBB34_10:
	v_and_b32_e32 v4, 0x7fffffff, v5
	s_brev_b32 s0, 18
	v_cmp_nlt_f32_e64 s[6:7], |v5|, s0
	v_lshrrev_b32_e32 v9, 23, v4
                                        ; implicit-def: $vgpr8
                                        ; implicit-def: $vgpr7
	s_and_saveexec_b64 s[0:1], s[6:7]
	s_xor_b64 s[12:13], exec, s[0:1]
	s_cbranch_execz .LBB34_12
; %bb.11:
	v_and_b32_e32 v7, 0x7fffff, v4
	v_or_b32_e32 v18, 0x800000, v7
	s_mov_b32 s0, 0xfe5163ab
	v_mad_u64_u32 v[7:8], s[0:1], v18, s0, 0
	v_mov_b32_e32 v11, 0
	s_mov_b32 s0, 0x3c439041
	v_mov_b32_e32 v10, v8
	v_mad_u64_u32 v[12:13], s[0:1], v18, s0, v[10:11]
	s_mov_b32 s0, 0xdb629599
	v_add_u32_e32 v8, 0xffffff88, v9
	v_mov_b32_e32 v10, v13
	v_mad_u64_u32 v[13:14], s[0:1], v18, s0, v[10:11]
	s_mov_b32 s0, 0xf534ddc0
	v_not_b32_e32 v17, 63
	v_mov_b32_e32 v10, v14
	v_mad_u64_u32 v[14:15], s[0:1], v18, s0, v[10:11]
	s_mov_b32 s0, 0xfc2757d1
	v_cmp_lt_u32_e32 vcc, 63, v8
	v_mov_b32_e32 v10, v15
	v_mad_u64_u32 v[15:16], s[0:1], v18, s0, v[10:11]
	v_cndmask_b32_e32 v10, 0, v17, vcc
	v_add_u32_e32 v8, v10, v8
	v_mov_b32_e32 v10, v16
	s_mov_b32 s0, 0x4e441529
	v_mad_u64_u32 v[16:17], s[0:1], v18, s0, v[10:11]
	v_not_b32_e32 v19, 31
	v_cmp_lt_u32_e64 s[0:1], 31, v8
	v_cndmask_b32_e64 v10, 0, v19, s[0:1]
	v_add_u32_e32 v8, v10, v8
	v_mov_b32_e32 v10, v17
	s_mov_b32 s2, 0xa2f9836e
	v_mad_u64_u32 v[10:11], s[2:3], v18, s2, v[10:11]
	v_cmp_lt_u32_e64 s[2:3], 31, v8
	v_cndmask_b32_e64 v17, 0, v19, s[2:3]
	v_add_u32_e32 v8, v17, v8
	v_cndmask_b32_e32 v17, v16, v14, vcc
	v_cndmask_b32_e32 v10, v10, v15, vcc
	;; [unrolled: 1-line block ×3, first 2 shown]
	v_cndmask_b32_e64 v18, v10, v17, s[0:1]
	v_cndmask_b32_e64 v10, v11, v10, s[0:1]
	v_cndmask_b32_e32 v11, v15, v13, vcc
	v_cndmask_b32_e64 v15, v17, v11, s[0:1]
	v_cndmask_b32_e64 v10, v10, v18, s[2:3]
	;; [unrolled: 1-line block ×3, first 2 shown]
	v_sub_u32_e32 v17, 32, v8
	v_alignbit_b32 v18, v10, v16, v17
	v_cmp_eq_u32_e64 s[4:5], 0, v8
	v_cndmask_b32_e64 v8, v18, v10, s[4:5]
	v_cndmask_b32_e32 v10, v14, v12, vcc
	v_cndmask_b32_e64 v11, v11, v10, s[0:1]
	v_cndmask_b32_e64 v12, v15, v11, s[2:3]
	v_alignbit_b32 v14, v16, v12, v17
	v_cndmask_b32_e32 v7, v13, v7, vcc
	v_cndmask_b32_e64 v14, v14, v16, s[4:5]
	v_bfe_u32 v18, v8, 29, 1
	v_cndmask_b32_e64 v7, v10, v7, s[0:1]
	v_alignbit_b32 v15, v8, v14, 30
	v_sub_u32_e32 v19, 0, v18
	v_cndmask_b32_e64 v7, v11, v7, s[2:3]
	v_xor_b32_e32 v15, v15, v19
	v_alignbit_b32 v10, v12, v7, v17
	v_cndmask_b32_e64 v10, v10, v12, s[4:5]
	v_ffbh_u32_e32 v12, v15
	v_alignbit_b32 v11, v14, v10, 30
	v_min_u32_e32 v12, 32, v12
	v_alignbit_b32 v7, v10, v7, 30
	v_xor_b32_e32 v11, v11, v19
	v_sub_u32_e32 v13, 31, v12
	v_xor_b32_e32 v7, v7, v19
	v_alignbit_b32 v14, v15, v11, v13
	v_alignbit_b32 v7, v11, v7, v13
	v_alignbit_b32 v10, v14, v7, 9
	v_ffbh_u32_e32 v11, v10
	v_min_u32_e32 v11, 32, v11
	v_lshrrev_b32_e32 v16, 29, v8
	v_not_b32_e32 v13, v11
	v_alignbit_b32 v7, v10, v7, v13
	v_lshlrev_b32_e32 v10, 31, v16
	v_or_b32_e32 v13, 0x33000000, v10
	v_add_lshl_u32 v11, v11, v12, 23
	v_lshrrev_b32_e32 v7, 9, v7
	v_sub_u32_e32 v11, v13, v11
	v_or_b32_e32 v10, 0.5, v10
	v_lshlrev_b32_e32 v12, 23, v12
	v_or_b32_e32 v7, v11, v7
	v_lshrrev_b32_e32 v11, 9, v14
	v_sub_u32_e32 v10, v10, v12
	v_or_b32_e32 v10, v11, v10
	s_mov_b32 s0, 0x3fc90fda
	v_mul_f32_e32 v11, 0x3fc90fda, v10
	v_fma_f32 v12, v10, s0, -v11
	v_fmac_f32_e32 v12, 0x33a22168, v10
	v_fmac_f32_e32 v12, 0x3fc90fda, v7
	v_lshrrev_b32_e32 v8, 30, v8
	v_add_f32_e32 v7, v11, v12
	v_add_u32_e32 v8, v18, v8
	s_andn2_saveexec_b64 s[0:1], s[12:13]
	s_cbranch_execz .LBB34_14
	s_branch .LBB34_13
.LBB34_12:
	s_andn2_saveexec_b64 s[0:1], s[12:13]
	s_cbranch_execz .LBB34_14
.LBB34_13:
	s_mov_b32 s2, 0x3f22f983
	v_mul_f32_e64 v7, |v5|, s2
	v_rndne_f32_e32 v10, v7
	s_mov_b32 s2, 0xbfc90fda
	v_cvt_i32_f32_e32 v8, v10
	v_fma_f32 v7, v10, s2, |v5|
	v_fmac_f32_e32 v7, 0xb3a22168, v10
	v_fmac_f32_e32 v7, 0xa7c234c4, v10
.LBB34_14:
	s_or_b64 exec, exec, s[0:1]
                                        ; implicit-def: $vgpr11
                                        ; implicit-def: $vgpr10
	s_and_saveexec_b64 s[0:1], s[6:7]
	s_xor_b64 s[6:7], exec, s[0:1]
	s_cbranch_execz .LBB34_16
; %bb.15:
	v_and_b32_e32 v10, 0x7fffff, v4
	v_or_b32_e32 v19, 0x800000, v10
	s_mov_b32 s0, 0xfe5163ab
	v_mad_u64_u32 v[10:11], s[0:1], v19, s0, 0
	v_mov_b32_e32 v12, 0
	s_mov_b32 s0, 0x3c439041
	v_mad_u64_u32 v[13:14], s[0:1], v19, s0, v[11:12]
	s_mov_b32 s0, 0xdb629599
	v_add_u32_e32 v9, 0xffffff88, v9
	v_mov_b32_e32 v11, v14
	v_mad_u64_u32 v[14:15], s[0:1], v19, s0, v[11:12]
	s_mov_b32 s0, 0xf534ddc0
	v_not_b32_e32 v18, 63
	v_mov_b32_e32 v11, v15
	v_mad_u64_u32 v[15:16], s[0:1], v19, s0, v[11:12]
	s_mov_b32 s0, 0xfc2757d1
	v_cmp_lt_u32_e32 vcc, 63, v9
	v_mov_b32_e32 v11, v16
	v_mad_u64_u32 v[16:17], s[0:1], v19, s0, v[11:12]
	v_cndmask_b32_e32 v11, 0, v18, vcc
	v_add_u32_e32 v9, v11, v9
	v_mov_b32_e32 v11, v17
	s_mov_b32 s0, 0x4e441529
	v_mad_u64_u32 v[17:18], s[0:1], v19, s0, v[11:12]
	v_not_b32_e32 v20, 31
	v_cmp_lt_u32_e64 s[0:1], 31, v9
	v_cndmask_b32_e64 v11, 0, v20, s[0:1]
	v_add_u32_e32 v9, v11, v9
	v_mov_b32_e32 v11, v18
	s_mov_b32 s2, 0xa2f9836e
	v_mad_u64_u32 v[11:12], s[2:3], v19, s2, v[11:12]
	v_cmp_lt_u32_e64 s[2:3], 31, v9
	v_cndmask_b32_e64 v18, 0, v20, s[2:3]
	v_add_u32_e32 v9, v18, v9
	v_cndmask_b32_e32 v18, v17, v15, vcc
	v_cndmask_b32_e32 v11, v11, v16, vcc
	;; [unrolled: 1-line block ×3, first 2 shown]
	v_cndmask_b32_e64 v19, v11, v18, s[0:1]
	v_cndmask_b32_e64 v11, v12, v11, s[0:1]
	v_cndmask_b32_e32 v12, v16, v14, vcc
	v_cndmask_b32_e64 v16, v18, v12, s[0:1]
	v_cndmask_b32_e64 v11, v11, v19, s[2:3]
	;; [unrolled: 1-line block ×3, first 2 shown]
	v_sub_u32_e32 v18, 32, v9
	v_alignbit_b32 v19, v11, v17, v18
	v_cmp_eq_u32_e64 s[4:5], 0, v9
	v_cndmask_b32_e64 v9, v19, v11, s[4:5]
	v_cndmask_b32_e32 v11, v15, v13, vcc
	v_cndmask_b32_e64 v12, v12, v11, s[0:1]
	v_cndmask_b32_e64 v13, v16, v12, s[2:3]
	v_alignbit_b32 v15, v17, v13, v18
	v_cndmask_b32_e32 v10, v14, v10, vcc
	v_cndmask_b32_e64 v15, v15, v17, s[4:5]
	v_bfe_u32 v19, v9, 29, 1
	v_cndmask_b32_e64 v10, v11, v10, s[0:1]
	v_alignbit_b32 v16, v9, v15, 30
	v_sub_u32_e32 v20, 0, v19
	v_cndmask_b32_e64 v10, v12, v10, s[2:3]
	v_xor_b32_e32 v16, v16, v20
	v_alignbit_b32 v11, v13, v10, v18
	v_cndmask_b32_e64 v11, v11, v13, s[4:5]
	v_ffbh_u32_e32 v13, v16
	v_alignbit_b32 v12, v15, v11, 30
	v_min_u32_e32 v13, 32, v13
	v_alignbit_b32 v10, v11, v10, 30
	v_xor_b32_e32 v12, v12, v20
	v_sub_u32_e32 v14, 31, v13
	v_xor_b32_e32 v10, v10, v20
	v_alignbit_b32 v15, v16, v12, v14
	v_alignbit_b32 v10, v12, v10, v14
	;; [unrolled: 1-line block ×3, first 2 shown]
	v_ffbh_u32_e32 v12, v11
	v_min_u32_e32 v12, 32, v12
	v_lshrrev_b32_e32 v17, 29, v9
	v_not_b32_e32 v14, v12
	v_alignbit_b32 v10, v11, v10, v14
	v_lshlrev_b32_e32 v11, 31, v17
	v_or_b32_e32 v14, 0x33000000, v11
	v_add_lshl_u32 v12, v12, v13, 23
	v_lshrrev_b32_e32 v10, 9, v10
	v_sub_u32_e32 v12, v14, v12
	v_or_b32_e32 v11, 0.5, v11
	v_lshlrev_b32_e32 v13, 23, v13
	v_or_b32_e32 v10, v12, v10
	v_lshrrev_b32_e32 v12, 9, v15
	v_sub_u32_e32 v11, v11, v13
	v_or_b32_e32 v11, v12, v11
	s_mov_b32 s0, 0x3fc90fda
	v_mul_f32_e32 v12, 0x3fc90fda, v11
	v_fma_f32 v13, v11, s0, -v12
	v_fmac_f32_e32 v13, 0x33a22168, v11
	v_fmac_f32_e32 v13, 0x3fc90fda, v10
	v_lshrrev_b32_e32 v9, 30, v9
	v_add_f32_e32 v10, v12, v13
	v_add_u32_e32 v11, v19, v9
	s_andn2_saveexec_b64 s[0:1], s[6:7]
	s_cbranch_execnz .LBB34_17
	s_branch .LBB34_18
.LBB34_16:
	s_andn2_saveexec_b64 s[0:1], s[6:7]
	s_cbranch_execz .LBB34_18
.LBB34_17:
	s_mov_b32 s2, 0x3f22f983
	v_mul_f32_e64 v9, |v5|, s2
	v_rndne_f32_e32 v9, v9
	s_mov_b32 s2, 0xbfc90fda
	v_cvt_i32_f32_e32 v11, v9
	v_fma_f32 v10, v9, s2, |v5|
	v_fmac_f32_e32 v10, 0xb3a22168, v9
	v_fmac_f32_e32 v10, 0xa7c234c4, v9
.LBB34_18:
	s_or_b64 exec, exec, s[0:1]
	v_lshlrev_b64 v[2:3], 2, v[2:3]
	v_mov_b32_e32 v9, s9
	v_add_co_u32_e32 v2, vcc, s8, v2
	v_addc_co_u32_e32 v3, vcc, v9, v3, vcc
	global_load_dwordx2 v[2:3], v[2:3], off
	v_mul_f32_e32 v9, v7, v7
	v_mov_b32_e32 v13, 0x3c0881c4
	v_mov_b32_e32 v16, 0xbab64f3b
	v_mov_b32_e32 v12, 0x3c0881c4
	v_mov_b32_e32 v14, 0xbe2aaa9d
	v_mov_b32_e32 v15, 0xbab64f3b
	v_mov_b32_e32 v17, 0x3d2aabf7
	v_mul_f32_e32 v19, v10, v10
	v_fmac_f32_e32 v13, 0xb94c1982, v9
	v_fmac_f32_e32 v16, 0x37d75334, v9
	v_mov_b32_e32 v18, 0xbf000004
	v_fmac_f32_e32 v12, 0xb94c1982, v19
	v_fma_f32 v13, v9, v13, v14
	v_fmac_f32_e32 v15, 0x37d75334, v19
	v_fma_f32 v16, v9, v16, v17
	v_fmac_f32_e32 v14, v19, v12
	v_and_b32_e32 v12, 1, v8
	v_fmac_f32_e32 v17, v19, v15
	v_fma_f32 v16, v9, v16, v18
	v_mul_f32_e32 v13, v9, v13
	v_lshlrev_b32_e32 v15, 30, v11
	v_and_b32_e32 v11, 1, v11
	v_fmac_f32_e32 v18, v19, v17
	v_mul_f32_e32 v14, v19, v14
	v_fmac_f32_e32 v7, v7, v13
	v_fma_f32 v9, v9, v16, 1.0
	v_cmp_eq_u32_e32 vcc, 0, v12
	v_xor_b32_e32 v4, v4, v5
	v_and_b32_e32 v15, 0x80000000, v15
	v_fmac_f32_e32 v10, v10, v14
	v_fma_f32 v13, v19, v18, 1.0
	v_cndmask_b32_e64 v7, -v7, v9, vcc
	v_cmp_eq_u32_e32 vcc, 0, v11
	v_lshlrev_b32_e32 v8, 30, v8
	s_movk_i32 s0, 0x1f8
	v_xor_b32_e32 v4, v4, v15
	v_cndmask_b32_e32 v9, v13, v10, vcc
	v_mov_b32_e32 v15, 0x7fc00000
	v_and_b32_e32 v8, 0x80000000, v8
	v_xor_b32_e32 v4, v4, v9
	v_cmp_class_f32_e64 vcc, v5, s0
	v_lshlrev_b64 v[0:1], 2, v[0:1]
	v_xor_b32_e32 v7, v8, v7
	v_cndmask_b32_e32 v4, v15, v4, vcc
	v_cndmask_b32_e32 v5, v15, v7, vcc
	v_mul_f32_e64 v4, v4, -v6
	v_mov_b32_e32 v17, s11
	v_mul_f32_e32 v7, v6, v5
	v_add_co_u32_e32 v0, vcc, s10, v0
	v_addc_co_u32_e32 v1, vcc, v17, v1, vcc
	s_waitcnt vmcnt(0)
	v_mul_f32_e32 v6, v3, v4
	v_mul_f32_e32 v5, v2, v4
	v_fma_f32 v4, v7, v2, -v6
	v_fmac_f32_e32 v5, v7, v3
	global_store_dwordx2 v[0:1], v[4:5], off
.LBB34_19:
	s_endpgm
	.section	.rodata,"a",@progbits
	.p2align	6, 0x0
	.amdhsa_kernel _ZL9rope_normILb0ELb0EffEvPKT1_PT2_iiiiiiiiiiPKifff14rope_corr_dimsfPKfPKli
		.amdhsa_group_segment_fixed_size 0
		.amdhsa_private_segment_fixed_size 0
		.amdhsa_kernarg_size 368
		.amdhsa_user_sgpr_count 6
		.amdhsa_user_sgpr_private_segment_buffer 1
		.amdhsa_user_sgpr_dispatch_ptr 0
		.amdhsa_user_sgpr_queue_ptr 0
		.amdhsa_user_sgpr_kernarg_segment_ptr 1
		.amdhsa_user_sgpr_dispatch_id 0
		.amdhsa_user_sgpr_flat_scratch_init 0
		.amdhsa_user_sgpr_private_segment_size 0
		.amdhsa_uses_dynamic_stack 0
		.amdhsa_system_sgpr_private_segment_wavefront_offset 0
		.amdhsa_system_sgpr_workgroup_id_x 1
		.amdhsa_system_sgpr_workgroup_id_y 1
		.amdhsa_system_sgpr_workgroup_id_z 0
		.amdhsa_system_sgpr_workgroup_info 0
		.amdhsa_system_vgpr_workitem_id 1
		.amdhsa_next_free_vgpr 21
		.amdhsa_next_free_sgpr 18
		.amdhsa_reserve_vcc 1
		.amdhsa_reserve_flat_scratch 0
		.amdhsa_float_round_mode_32 0
		.amdhsa_float_round_mode_16_64 0
		.amdhsa_float_denorm_mode_32 3
		.amdhsa_float_denorm_mode_16_64 3
		.amdhsa_dx10_clamp 1
		.amdhsa_ieee_mode 1
		.amdhsa_fp16_overflow 0
		.amdhsa_exception_fp_ieee_invalid_op 0
		.amdhsa_exception_fp_denorm_src 0
		.amdhsa_exception_fp_ieee_div_zero 0
		.amdhsa_exception_fp_ieee_overflow 0
		.amdhsa_exception_fp_ieee_underflow 0
		.amdhsa_exception_fp_ieee_inexact 0
		.amdhsa_exception_int_div_zero 0
	.end_amdhsa_kernel
	.section	.text._ZL9rope_normILb0ELb0EffEvPKT1_PT2_iiiiiiiiiiPKifff14rope_corr_dimsfPKfPKli,"axG",@progbits,_ZL9rope_normILb0ELb0EffEvPKT1_PT2_iiiiiiiiiiPKifff14rope_corr_dimsfPKfPKli,comdat
.Lfunc_end34:
	.size	_ZL9rope_normILb0ELb0EffEvPKT1_PT2_iiiiiiiiiiPKifff14rope_corr_dimsfPKfPKli, .Lfunc_end34-_ZL9rope_normILb0ELb0EffEvPKT1_PT2_iiiiiiiiiiPKifff14rope_corr_dimsfPKfPKli
                                        ; -- End function
	.set _ZL9rope_normILb0ELb0EffEvPKT1_PT2_iiiiiiiiiiPKifff14rope_corr_dimsfPKfPKli.num_vgpr, 21
	.set _ZL9rope_normILb0ELb0EffEvPKT1_PT2_iiiiiiiiiiPKifff14rope_corr_dimsfPKfPKli.num_agpr, 0
	.set _ZL9rope_normILb0ELb0EffEvPKT1_PT2_iiiiiiiiiiPKifff14rope_corr_dimsfPKfPKli.numbered_sgpr, 18
	.set _ZL9rope_normILb0ELb0EffEvPKT1_PT2_iiiiiiiiiiPKifff14rope_corr_dimsfPKfPKli.num_named_barrier, 0
	.set _ZL9rope_normILb0ELb0EffEvPKT1_PT2_iiiiiiiiiiPKifff14rope_corr_dimsfPKfPKli.private_seg_size, 0
	.set _ZL9rope_normILb0ELb0EffEvPKT1_PT2_iiiiiiiiiiPKifff14rope_corr_dimsfPKfPKli.uses_vcc, 1
	.set _ZL9rope_normILb0ELb0EffEvPKT1_PT2_iiiiiiiiiiPKifff14rope_corr_dimsfPKfPKli.uses_flat_scratch, 0
	.set _ZL9rope_normILb0ELb0EffEvPKT1_PT2_iiiiiiiiiiPKifff14rope_corr_dimsfPKfPKli.has_dyn_sized_stack, 0
	.set _ZL9rope_normILb0ELb0EffEvPKT1_PT2_iiiiiiiiiiPKifff14rope_corr_dimsfPKfPKli.has_recursion, 0
	.set _ZL9rope_normILb0ELb0EffEvPKT1_PT2_iiiiiiiiiiPKifff14rope_corr_dimsfPKfPKli.has_indirect_call, 0
	.section	.AMDGPU.csdata,"",@progbits
; Kernel info:
; codeLenInByte = 3692
; TotalNumSgprs: 22
; NumVgprs: 21
; ScratchSize: 0
; MemoryBound: 0
; FloatMode: 240
; IeeeMode: 1
; LDSByteSize: 0 bytes/workgroup (compile time only)
; SGPRBlocks: 2
; VGPRBlocks: 5
; NumSGPRsForWavesPerEU: 22
; NumVGPRsForWavesPerEU: 21
; Occupancy: 10
; WaveLimiterHint : 0
; COMPUTE_PGM_RSRC2:SCRATCH_EN: 0
; COMPUTE_PGM_RSRC2:USER_SGPR: 6
; COMPUTE_PGM_RSRC2:TRAP_HANDLER: 0
; COMPUTE_PGM_RSRC2:TGID_X_EN: 1
; COMPUTE_PGM_RSRC2:TGID_Y_EN: 1
; COMPUTE_PGM_RSRC2:TGID_Z_EN: 0
; COMPUTE_PGM_RSRC2:TIDIG_COMP_CNT: 1
	.section	.text._ZL9rope_normILb0ELb1EffEvPKT1_PT2_iiiiiiiiiiPKifff14rope_corr_dimsfPKfPKli,"axG",@progbits,_ZL9rope_normILb0ELb1EffEvPKT1_PT2_iiiiiiiiiiPKifff14rope_corr_dimsfPKfPKli,comdat
	.globl	_ZL9rope_normILb0ELb1EffEvPKT1_PT2_iiiiiiiiiiPKifff14rope_corr_dimsfPKfPKli ; -- Begin function _ZL9rope_normILb0ELb1EffEvPKT1_PT2_iiiiiiiiiiPKifff14rope_corr_dimsfPKfPKli
	.p2align	8
	.type	_ZL9rope_normILb0ELb1EffEvPKT1_PT2_iiiiiiiiiiPKifff14rope_corr_dimsfPKfPKli,@function
_ZL9rope_normILb0ELb1EffEvPKT1_PT2_iiiiiiiiiiPKifff14rope_corr_dimsfPKfPKli: ; @_ZL9rope_normILb0ELb1EffEvPKT1_PT2_iiiiiiiiiiPKifff14rope_corr_dimsfPKfPKli
; %bb.0:
	s_load_dword s2, s[4:5], 0x7c
	s_load_dwordx8 s[8:15], s[4:5], 0x10
	s_add_u32 s0, s4, 0x70
	s_addc_u32 s1, s5, 0
	s_waitcnt lgkmcnt(0)
	s_lshr_b32 s2, s2, 16
	s_mul_i32 s7, s7, s2
	v_add_lshl_u32 v4, s7, v1, 1
	v_cmp_gt_i32_e32 vcc, s8, v4
	s_and_saveexec_b64 s[2:3], vcc
	s_cbranch_execz .LBB35_19
; %bb.1:
	s_mul_i32 s2, s10, s9
	s_abs_i32 s3, s2
	v_cvt_f32_u32_e32 v1, s3
	s_load_dword s0, s[0:1], 0xc
	s_sub_i32 s1, 0, s3
	v_cvt_f32_u32_e32 v2, s9
	v_rcp_iflag_f32_e32 v1, v1
	s_load_dword s8, s[4:5], 0x68
	s_waitcnt lgkmcnt(0)
	s_and_b32 s0, s0, 0xffff
	v_rcp_iflag_f32_e32 v2, v2
	v_mul_f32_e32 v1, 0x4f7ffffe, v1
	v_cvt_u32_f32_e32 v1, v1
	s_mul_i32 s6, s6, s0
	v_add_u32_e32 v0, s6, v0
	v_sub_u32_e32 v5, 0, v0
	v_mul_lo_u32 v3, s1, v1
	v_max_i32_e32 v5, v0, v5
	v_mul_f32_e32 v2, 0x4f7ffffe, v2
	v_cvt_u32_f32_e32 v6, v2
	v_mul_hi_u32 v3, v1, v3
	s_sub_i32 s0, 0, s9
	s_cmp_eq_u32 s8, 0
	v_mul_lo_u32 v2, s0, v6
	v_add_u32_e32 v1, v1, v3
	v_mul_hi_u32 v1, v5, v1
	v_xor_b32_e32 v3, s2, v0
	v_mul_hi_u32 v8, v6, v2
	v_ashrrev_i32_e32 v3, 31, v3
	v_mul_lo_u32 v7, v1, s3
	v_add_u32_e32 v2, 1, v1
	v_sub_u32_e32 v5, v5, v7
	v_cmp_le_u32_e32 vcc, s3, v5
	v_cndmask_b32_e32 v1, v1, v2, vcc
	v_subrev_u32_e32 v2, s3, v5
	v_cndmask_b32_e32 v2, v5, v2, vcc
	v_add_u32_e32 v5, 1, v1
	v_cmp_le_u32_e32 vcc, s3, v2
	v_cndmask_b32_e32 v1, v1, v5, vcc
	v_xor_b32_e32 v1, v1, v3
	v_sub_u32_e32 v2, v1, v3
	v_mul_lo_u32 v1, s2, v2
	v_add_u32_e32 v5, v6, v8
	s_load_dwordx2 s[6:7], s[4:5], 0x30
	s_load_dwordx4 s[0:3], s[4:5], 0x58
	v_sub_u32_e32 v3, v0, v1
	v_mul_hi_u32 v0, v3, v5
	v_mul_lo_u32 v1, v0, s9
	v_add_u32_e32 v5, 1, v0
	v_sub_u32_e32 v1, v3, v1
	v_cmp_le_u32_e32 vcc, s9, v1
	v_cndmask_b32_e32 v0, v0, v5, vcc
	v_subrev_u32_e32 v5, s9, v1
	v_cndmask_b32_e32 v1, v1, v5, vcc
	v_add_u32_e32 v5, 1, v0
	v_cmp_le_u32_e32 vcc, s9, v1
	v_cndmask_b32_e32 v5, v0, v5, vcc
	s_cbranch_scc1 .LBB35_3
; %bb.2:
	v_mov_b32_e32 v6, 0
	v_lshlrev_b64 v[0:1], 3, v[5:6]
	s_waitcnt lgkmcnt(0)
	v_mov_b32_e32 v6, s3
	v_add_co_u32_e32 v0, vcc, s2, v0
	v_addc_co_u32_e32 v1, vcc, v6, v1, vcc
	global_load_dword v0, v[0:1], off
	s_waitcnt vmcnt(0)
	v_mul_lo_u32 v0, s8, v0
	s_branch .LBB35_4
.LBB35_3:
	s_waitcnt lgkmcnt(0)
	v_mul_lo_u32 v0, v2, s6
	v_mad_u64_u32 v[0:1], s[2:3], v5, s15, v[0:1]
.LBB35_4:
	v_mul_lo_u32 v6, v5, s9
	v_mad_u64_u32 v[1:2], s[2:3], v2, s13, v[4:5]
	v_mul_lo_u32 v7, v5, s12
	v_sub_u32_e32 v2, v3, v6
	v_mul_lo_u32 v3, v2, s11
	v_mul_lo_u32 v6, v2, s14
	s_load_dwordx4 s[8:11], s[4:5], 0x0
	v_cmp_le_i32_e32 vcc, s7, v4
	v_add3_u32 v2, v1, v7, v3
	v_add3_u32 v0, v6, v4, v0
	v_ashrrev_i32_e32 v3, 31, v2
	v_ashrrev_i32_e32 v1, 31, v0
	s_and_saveexec_b64 s[2:3], vcc
	s_xor_b64 s[2:3], exec, s[2:3]
	s_cbranch_execz .LBB35_6
; %bb.5:
	v_lshlrev_b64 v[2:3], 2, v[2:3]
	s_waitcnt lgkmcnt(0)
	v_mov_b32_e32 v4, s9
	v_add_co_u32_e32 v2, vcc, s8, v2
	v_addc_co_u32_e32 v3, vcc, v4, v3, vcc
	global_load_dwordx2 v[2:3], v[2:3], off
	v_lshlrev_b64 v[0:1], 2, v[0:1]
	v_mov_b32_e32 v4, s11
	v_add_co_u32_e32 v0, vcc, s10, v0
	v_addc_co_u32_e32 v1, vcc, v4, v1, vcc
                                        ; implicit-def: $vgpr5
                                        ; implicit-def: $vgpr4
	s_waitcnt vmcnt(0)
	global_store_dwordx2 v[0:1], v[2:3], off
                                        ; implicit-def: $vgpr2
                                        ; implicit-def: $vgpr0
.LBB35_6:
	s_andn2_saveexec_b64 s[2:3], s[2:3]
	s_cbranch_execz .LBB35_19
; %bb.7:
	s_load_dwordx2 s[2:3], s[4:5], 0x38
	s_load_dwordx2 s[12:13], s[4:5], 0x50
	v_mov_b32_e32 v6, 0
	v_lshlrev_b64 v[5:6], 2, v[5:6]
	v_mov_b32_e32 v10, 0x3e91f4c4
	s_waitcnt lgkmcnt(0)
	v_mov_b32_e32 v7, s3
	v_add_co_u32_e32 v5, vcc, s2, v5
	v_addc_co_u32_e32 v6, vcc, v7, v6, vcc
	global_load_dword v5, v[5:6], off
	v_cvt_f32_i32_e32 v6, v4
	v_cmp_neq_f32_e64 vcc, s13, 1.0
	s_mov_b32 s2, 0x3f2aaaab
	v_mov_b32_e32 v11, 0x3ecccdef
	v_mul_f32_e32 v6, 0.5, v6
	v_cndmask_b32_e32 v7, 1.0, v6, vcc
	v_mov_b32_e32 v6, s13
	v_cmp_neq_f32_e32 vcc, 0, v7
	v_cndmask_b32_e32 v6, 1.0, v6, vcc
	v_frexp_mant_f32_e64 v12, |v6|
	v_cmp_gt_f32_e32 vcc, s2, v12
	v_cvt_f64_f32_e64 v[8:9], |v6|
	v_cndmask_b32_e64 v13, 1.0, 2.0, vcc
	v_mul_f32_e32 v12, v12, v13
	v_add_f32_e32 v14, 1.0, v12
	v_rcp_f32_e32 v15, v14
	v_frexp_exp_i32_f64_e32 v8, v[8:9]
	v_add_f32_e32 v13, -1.0, v12
	v_add_f32_e32 v16, -1.0, v14
	v_sub_f32_e32 v9, v12, v16
	v_mul_f32_e32 v12, v13, v15
	v_mul_f32_e32 v16, v14, v12
	v_fma_f32 v14, v12, v14, -v16
	v_fmac_f32_e32 v14, v12, v9
	v_add_f32_e32 v9, v16, v14
	v_subbrev_co_u32_e32 v8, vcc, 0, v8, vcc
	v_sub_f32_e32 v17, v13, v9
	v_sub_f32_e32 v16, v9, v16
	v_cvt_f32_i32_e32 v18, v8
	v_sub_f32_e32 v8, v13, v17
	v_sub_f32_e32 v13, v16, v14
	v_sub_f32_e32 v8, v8, v9
	v_add_f32_e32 v8, v13, v8
	v_add_f32_e32 v8, v17, v8
	v_mul_f32_e32 v8, v15, v8
	v_add_f32_e32 v14, v12, v8
	v_sub_f32_e32 v12, v14, v12
	v_mul_f32_e32 v15, v14, v14
	v_sub_f32_e32 v12, v8, v12
	v_fma_f32 v8, v14, v14, -v15
	v_add_f32_e32 v16, v12, v12
	v_fmac_f32_e32 v8, v14, v16
	v_add_f32_e32 v16, v15, v8
	v_fmac_f32_e32 v10, 0x3e76c4e1, v16
	v_mul_f32_e32 v17, v14, v16
	v_sub_f32_e32 v15, v16, v15
	v_fmac_f32_e32 v11, v16, v10
	v_fma_f32 v10, v16, v14, -v17
	v_sub_f32_e32 v8, v8, v15
	v_fmac_f32_e32 v10, v16, v12
	v_mul_f32_e32 v15, v16, v11
	v_fmac_f32_e32 v10, v8, v14
	v_fma_f32 v16, v16, v11, -v15
	v_add_f32_e32 v19, v17, v10
	v_fmac_f32_e32 v16, v8, v11
	v_sub_f32_e32 v8, v19, v17
	v_add_f32_e32 v11, v15, v16
	v_sub_f32_e32 v8, v10, v8
	v_add_f32_e32 v10, 0x3f2aaaaa, v11
	v_sub_f32_e32 v15, v11, v15
	v_sub_f32_e32 v15, v16, v15
	v_add_f32_e32 v16, 0xbf2aaaaa, v10
	v_add_f32_e32 v15, 0x31739010, v15
	v_sub_f32_e32 v11, v11, v16
	v_add_f32_e32 v11, v15, v11
	v_add_f32_e32 v15, v10, v11
	s_mov_b32 s3, 0x3f317218
	v_mul_f32_e32 v9, 0x3f317218, v18
	v_sub_f32_e32 v10, v10, v15
	v_mul_f32_e32 v16, v19, v15
	v_fma_f32 v13, v18, s3, -v9
	v_add_f32_e32 v10, v11, v10
	v_fma_f32 v11, v19, v15, -v16
	v_fmac_f32_e32 v11, v19, v10
	v_fmac_f32_e32 v13, 0xb102e308, v18
	;; [unrolled: 1-line block ×3, first 2 shown]
	v_ldexp_f32 v10, v14, 1
	v_ashrrev_i32_e32 v4, 1, v4
	s_waitcnt vmcnt(0)
	v_cvt_f32_i32_e32 v8, v5
	v_ldexp_f32 v5, v12, 1
	v_add_f32_e32 v12, v9, v13
	v_sub_f32_e32 v9, v12, v9
	v_sub_f32_e32 v9, v13, v9
	v_add_f32_e32 v13, v16, v11
	v_sub_f32_e32 v14, v13, v16
	v_sub_f32_e32 v11, v11, v14
	v_add_f32_e32 v14, v10, v13
	v_sub_f32_e32 v10, v14, v10
	v_sub_f32_e32 v10, v13, v10
	v_add_f32_e32 v5, v5, v11
	v_add_f32_e32 v5, v5, v10
	;; [unrolled: 1-line block ×3, first 2 shown]
	v_sub_f32_e32 v11, v10, v14
	v_sub_f32_e32 v5, v5, v11
	v_add_f32_e32 v11, v12, v10
	v_sub_f32_e32 v13, v11, v12
	v_sub_f32_e32 v14, v11, v13
	;; [unrolled: 1-line block ×4, first 2 shown]
	v_add_f32_e32 v13, v9, v5
	v_add_f32_e32 v12, v10, v12
	v_sub_f32_e32 v10, v13, v9
	v_sub_f32_e32 v14, v13, v10
	;; [unrolled: 1-line block ×4, first 2 shown]
	v_add_f32_e32 v14, v5, v9
	v_ashrrev_i32_e32 v5, 31, v4
	v_lshlrev_b64 v[9:10], 2, v[4:5]
	v_mov_b32_e32 v5, s1
	v_add_co_u32_e32 v9, vcc, s0, v9
	v_addc_co_u32_e32 v10, vcc, v5, v10, vcc
	global_load_dword v5, v[9:10], off
	v_add_f32_e32 v9, v13, v12
	v_add_f32_e32 v10, v11, v9
	v_sub_f32_e32 v11, v10, v11
	v_sub_f32_e32 v9, v9, v11
	v_add_f32_e32 v9, v14, v9
	v_add_f32_e32 v11, v10, v9
	v_sub_f32_e32 v10, v11, v10
	v_sub_f32_e32 v9, v9, v10
	v_mul_f32_e32 v10, v7, v11
	v_fma_f32 v11, v7, v11, -v10
	v_fmac_f32_e32 v11, v7, v9
	s_movk_i32 s14, 0x204
	v_add_f32_e32 v9, v10, v11
	v_cmp_class_f32_e64 vcc, v10, s14
	v_sub_f32_e32 v12, v9, v10
	v_cndmask_b32_e32 v9, v9, v10, vcc
	s_mov_b32 s0, 0x42b17218
	v_mov_b32_e32 v10, 0x37000000
	v_cmp_eq_f32_e32 vcc, s0, v9
	v_cndmask_b32_e32 v10, 0, v10, vcc
	v_sub_f32_e32 v11, v11, v12
	v_sub_f32_e32 v12, v9, v10
	s_mov_b32 s1, 0x3fb8aa3b
	v_mul_f32_e32 v13, 0x3fb8aa3b, v12
	v_fma_f32 v14, v12, s1, -v13
	v_rndne_f32_e32 v15, v13
	v_fmac_f32_e32 v14, 0x32a5705f, v12
	v_sub_f32_e32 v13, v13, v15
	v_add_f32_e32 v13, v13, v14
	v_exp_f32_e32 v13, v13
	v_cvt_i32_f32_e32 v14, v15
	s_mov_b32 s13, 0x7f800000
	v_cmp_neq_f32_e64 vcc, |v9|, s13
	v_cndmask_b32_e32 v9, 0, v11, vcc
	s_mov_b32 s1, 0xc2ce8ed0
	v_add_f32_e32 v9, v10, v9
	v_ldexp_f32 v10, v13, v14
	v_cmp_ngt_f32_e32 vcc, s1, v12
	v_cndmask_b32_e32 v10, 0, v10, vcc
	v_mov_b32_e32 v11, 0x7f800000
	v_cmp_nlt_f32_e32 vcc, s0, v12
	v_cndmask_b32_e32 v10, v11, v10, vcc
	v_fma_f32 v9, v10, v9, v10
	v_cmp_class_f32_e64 vcc, v10, s14
	v_cndmask_b32_e32 v9, v9, v10, vcc
	v_trunc_f32_e32 v10, v7
	v_cmp_eq_f32_e32 vcc, v10, v7
	v_mul_f32_e32 v10, 0.5, v7
	v_trunc_f32_e32 v13, v10
	v_cmp_neq_f32_e64 s[0:1], v13, v10
	s_and_b64 s[0:1], vcc, s[0:1]
	v_cndmask_b32_e64 v10, 1.0, v6, s[0:1]
	s_brev_b32 s15, -2
	v_mov_b32_e32 v12, 0x7fc00000
	v_bfi_b32 v9, s15, v9, v10
	v_cmp_neq_f32_e64 s[2:3], v7, |v7|
	v_cmp_lt_f32_e64 s[6:7], |v6|, 1.0
	v_cndmask_b32_e32 v10, v12, v9, vcc
	v_cmp_gt_f32_e32 vcc, 0, v6
	s_xor_b64 s[2:3], s[2:3], s[6:7]
	v_cndmask_b32_e32 v9, v9, v10, vcc
	v_cndmask_b32_e64 v10, v11, 0, s[2:3]
	v_cmp_neq_f32_e64 vcc, |v6|, 1.0
	v_cndmask_b32_e32 v10, 1.0, v10, vcc
	v_cmp_class_f32_e64 vcc, v7, s14
	v_cndmask_b32_e32 v9, v9, v10, vcc
	v_cmp_eq_f32_e32 vcc, 0, v6
	v_cmp_gt_f32_e64 s[2:3], 0, v7
	s_xor_b64 s[2:3], s[2:3], vcc
	v_cmp_class_f32_e64 s[6:7], v6, s14
	v_cndmask_b32_e64 v7, v11, 0, s[2:3]
	v_cndmask_b32_e64 v10, 0, v6, s[0:1]
	v_bfi_b32 v7, s15, v7, v10
	s_or_b64 vcc, vcc, s[6:7]
	v_cndmask_b32_e32 v7, v9, v7, vcc
	v_cmp_o_f32_e32 vcc, v6, v6
	v_cndmask_b32_e32 v6, v12, v7, vcc
	v_mul_f32_e32 v6, v6, v8
	s_load_dwordx4 s[4:7], s[4:5], 0x40
	s_waitcnt vmcnt(0)
	v_div_scale_f32 v7, s[0:1], v5, v5, v6
	v_div_scale_f32 v8, vcc, v6, v5, v6
	s_waitcnt lgkmcnt(0)
	v_cmp_eq_f32_e64 s[0:1], s5, 0
	v_rcp_f32_e32 v9, v7
	v_fma_f32 v10, -v7, v9, 1.0
	v_fmac_f32_e32 v9, v10, v9
	v_mul_f32_e32 v10, v8, v9
	v_fma_f32 v11, -v7, v10, v8
	v_fmac_f32_e32 v10, v11, v9
	v_fma_f32 v7, -v7, v10, v8
	v_div_fmas_f32 v7, v7, v9, v10
	s_and_b64 vcc, exec, s[0:1]
	v_div_fixup_f32 v7, v7, v5, v6
	v_mul_f32_e32 v5, s4, v7
	s_cbranch_vccnz .LBB35_9
; %bb.8:
	v_cvt_f32_i32_e32 v4, v4
	v_div_scale_f32 v8, s[0:1], s4, s4, 1.0
	v_mov_b32_e32 v6, s7
	v_sub_f32_e32 v6, s12, v6
	v_subrev_f32_e32 v4, s7, v4
	v_max_f32_e32 v6, 0x3a83126f, v6
	v_div_scale_f32 v9, s[0:1], v6, v6, v4
	v_div_scale_f32 v10, s[0:1], 1.0, s4, 1.0
	v_div_scale_f32 v11, vcc, v4, v6, v4
	s_mov_b32 s2, 0x3f317217
	v_rcp_f32_e32 v12, v8
	v_fma_f32 v13, -v8, v12, 1.0
	v_fmac_f32_e32 v12, v13, v12
	v_rcp_f32_e32 v14, v9
	v_mul_f32_e32 v13, v10, v12
	v_fma_f32 v15, -v8, v13, v10
	v_fmac_f32_e32 v13, v15, v12
	v_fma_f32 v15, -v9, v14, 1.0
	v_fmac_f32_e32 v14, v15, v14
	v_fma_f32 v8, -v8, v13, v10
	v_mul_f32_e32 v10, v11, v14
	v_fma_f32 v15, -v9, v10, v11
	v_fmac_f32_e32 v10, v15, v14
	v_fma_f32 v9, -v9, v10, v11
	v_div_fmas_f32 v9, v9, v14, v10
	s_mov_b64 vcc, s[0:1]
	v_div_fmas_f32 v8, v8, v12, v13
	s_mov_b32 s0, 0x800000
	v_mov_b32_e32 v10, 0x41b17218
	v_div_fixup_f32 v4, v9, v6, v4 clamp
	v_sub_f32_e32 v4, 1.0, v4
	v_div_fixup_f32 v6, v8, s4, 1.0
	v_cmp_gt_f32_e32 vcc, s0, v6
	s_and_b64 s[0:1], vcc, exec
	s_cselect_b32 s0, 32, 0
	v_ldexp_f32 v6, v6, s0
	v_log_f32_e32 v6, v6
	v_mul_f32_e32 v8, s5, v4
	v_fma_f32 v4, -s5, v4, 1.0
	v_mul_f32_e32 v5, v4, v5
	v_mul_f32_e32 v4, 0x3f317217, v6
	v_fma_f32 v4, v6, s2, -v4
	v_fmac_f32_e32 v4, 0x3377d1cf, v6
	v_cndmask_b32_e32 v9, 0, v10, vcc
	v_fmac_f32_e32 v4, 0x3f317217, v6
	v_cmp_lt_f32_e64 vcc, |v6|, s13
	v_cndmask_b32_e32 v4, v6, v4, vcc
	v_sub_f32_e32 v4, v4, v9
	s_mov_b32 s0, 0x3dcccccd
	v_fma_f32 v4, v4, s0, 1.0
	v_fmac_f32_e32 v5, v8, v7
	v_mul_f32_e32 v6, s6, v4
	s_branch .LBB35_10
.LBB35_9:
	v_mov_b32_e32 v6, s6
.LBB35_10:
	v_and_b32_e32 v4, 0x7fffffff, v5
	s_brev_b32 s0, 18
	v_cmp_nlt_f32_e64 s[6:7], |v5|, s0
	v_lshrrev_b32_e32 v9, 23, v4
                                        ; implicit-def: $vgpr8
                                        ; implicit-def: $vgpr7
	s_and_saveexec_b64 s[0:1], s[6:7]
	s_xor_b64 s[12:13], exec, s[0:1]
	s_cbranch_execz .LBB35_12
; %bb.11:
	v_and_b32_e32 v7, 0x7fffff, v4
	v_or_b32_e32 v18, 0x800000, v7
	s_mov_b32 s0, 0xfe5163ab
	v_mad_u64_u32 v[7:8], s[0:1], v18, s0, 0
	v_mov_b32_e32 v11, 0
	s_mov_b32 s0, 0x3c439041
	v_mov_b32_e32 v10, v8
	v_mad_u64_u32 v[12:13], s[0:1], v18, s0, v[10:11]
	s_mov_b32 s0, 0xdb629599
	v_add_u32_e32 v8, 0xffffff88, v9
	v_mov_b32_e32 v10, v13
	v_mad_u64_u32 v[13:14], s[0:1], v18, s0, v[10:11]
	s_mov_b32 s0, 0xf534ddc0
	v_not_b32_e32 v17, 63
	v_mov_b32_e32 v10, v14
	v_mad_u64_u32 v[14:15], s[0:1], v18, s0, v[10:11]
	s_mov_b32 s0, 0xfc2757d1
	v_cmp_lt_u32_e32 vcc, 63, v8
	v_mov_b32_e32 v10, v15
	v_mad_u64_u32 v[15:16], s[0:1], v18, s0, v[10:11]
	v_cndmask_b32_e32 v10, 0, v17, vcc
	v_add_u32_e32 v8, v10, v8
	v_mov_b32_e32 v10, v16
	s_mov_b32 s0, 0x4e441529
	v_mad_u64_u32 v[16:17], s[0:1], v18, s0, v[10:11]
	v_not_b32_e32 v19, 31
	v_cmp_lt_u32_e64 s[0:1], 31, v8
	v_cndmask_b32_e64 v10, 0, v19, s[0:1]
	v_add_u32_e32 v8, v10, v8
	v_mov_b32_e32 v10, v17
	s_mov_b32 s2, 0xa2f9836e
	v_mad_u64_u32 v[10:11], s[2:3], v18, s2, v[10:11]
	v_cmp_lt_u32_e64 s[2:3], 31, v8
	v_cndmask_b32_e64 v17, 0, v19, s[2:3]
	v_add_u32_e32 v8, v17, v8
	v_cndmask_b32_e32 v17, v16, v14, vcc
	v_cndmask_b32_e32 v10, v10, v15, vcc
	;; [unrolled: 1-line block ×3, first 2 shown]
	v_cndmask_b32_e64 v18, v10, v17, s[0:1]
	v_cndmask_b32_e64 v10, v11, v10, s[0:1]
	v_cndmask_b32_e32 v11, v15, v13, vcc
	v_cndmask_b32_e64 v15, v17, v11, s[0:1]
	v_cndmask_b32_e64 v10, v10, v18, s[2:3]
	;; [unrolled: 1-line block ×3, first 2 shown]
	v_sub_u32_e32 v17, 32, v8
	v_alignbit_b32 v18, v10, v16, v17
	v_cmp_eq_u32_e64 s[4:5], 0, v8
	v_cndmask_b32_e64 v8, v18, v10, s[4:5]
	v_cndmask_b32_e32 v10, v14, v12, vcc
	v_cndmask_b32_e64 v11, v11, v10, s[0:1]
	v_cndmask_b32_e64 v12, v15, v11, s[2:3]
	v_alignbit_b32 v14, v16, v12, v17
	v_cndmask_b32_e32 v7, v13, v7, vcc
	v_cndmask_b32_e64 v14, v14, v16, s[4:5]
	v_bfe_u32 v18, v8, 29, 1
	v_cndmask_b32_e64 v7, v10, v7, s[0:1]
	v_alignbit_b32 v15, v8, v14, 30
	v_sub_u32_e32 v19, 0, v18
	v_cndmask_b32_e64 v7, v11, v7, s[2:3]
	v_xor_b32_e32 v15, v15, v19
	v_alignbit_b32 v10, v12, v7, v17
	v_cndmask_b32_e64 v10, v10, v12, s[4:5]
	v_ffbh_u32_e32 v12, v15
	v_alignbit_b32 v11, v14, v10, 30
	v_min_u32_e32 v12, 32, v12
	v_alignbit_b32 v7, v10, v7, 30
	v_xor_b32_e32 v11, v11, v19
	v_sub_u32_e32 v13, 31, v12
	v_xor_b32_e32 v7, v7, v19
	v_alignbit_b32 v14, v15, v11, v13
	v_alignbit_b32 v7, v11, v7, v13
	;; [unrolled: 1-line block ×3, first 2 shown]
	v_ffbh_u32_e32 v11, v10
	v_min_u32_e32 v11, 32, v11
	v_lshrrev_b32_e32 v16, 29, v8
	v_not_b32_e32 v13, v11
	v_alignbit_b32 v7, v10, v7, v13
	v_lshlrev_b32_e32 v10, 31, v16
	v_or_b32_e32 v13, 0x33000000, v10
	v_add_lshl_u32 v11, v11, v12, 23
	v_lshrrev_b32_e32 v7, 9, v7
	v_sub_u32_e32 v11, v13, v11
	v_or_b32_e32 v10, 0.5, v10
	v_lshlrev_b32_e32 v12, 23, v12
	v_or_b32_e32 v7, v11, v7
	v_lshrrev_b32_e32 v11, 9, v14
	v_sub_u32_e32 v10, v10, v12
	v_or_b32_e32 v10, v11, v10
	s_mov_b32 s0, 0x3fc90fda
	v_mul_f32_e32 v11, 0x3fc90fda, v10
	v_fma_f32 v12, v10, s0, -v11
	v_fmac_f32_e32 v12, 0x33a22168, v10
	v_fmac_f32_e32 v12, 0x3fc90fda, v7
	v_lshrrev_b32_e32 v8, 30, v8
	v_add_f32_e32 v7, v11, v12
	v_add_u32_e32 v8, v18, v8
	s_andn2_saveexec_b64 s[0:1], s[12:13]
	s_cbranch_execz .LBB35_14
	s_branch .LBB35_13
.LBB35_12:
	s_andn2_saveexec_b64 s[0:1], s[12:13]
	s_cbranch_execz .LBB35_14
.LBB35_13:
	s_mov_b32 s2, 0x3f22f983
	v_mul_f32_e64 v7, |v5|, s2
	v_rndne_f32_e32 v10, v7
	s_mov_b32 s2, 0xbfc90fda
	v_cvt_i32_f32_e32 v8, v10
	v_fma_f32 v7, v10, s2, |v5|
	v_fmac_f32_e32 v7, 0xb3a22168, v10
	v_fmac_f32_e32 v7, 0xa7c234c4, v10
.LBB35_14:
	s_or_b64 exec, exec, s[0:1]
                                        ; implicit-def: $vgpr11
                                        ; implicit-def: $vgpr10
	s_and_saveexec_b64 s[0:1], s[6:7]
	s_xor_b64 s[6:7], exec, s[0:1]
	s_cbranch_execz .LBB35_16
; %bb.15:
	v_and_b32_e32 v10, 0x7fffff, v4
	v_or_b32_e32 v19, 0x800000, v10
	s_mov_b32 s0, 0xfe5163ab
	v_mad_u64_u32 v[10:11], s[0:1], v19, s0, 0
	v_mov_b32_e32 v12, 0
	s_mov_b32 s0, 0x3c439041
	v_mad_u64_u32 v[13:14], s[0:1], v19, s0, v[11:12]
	s_mov_b32 s0, 0xdb629599
	v_add_u32_e32 v9, 0xffffff88, v9
	v_mov_b32_e32 v11, v14
	v_mad_u64_u32 v[14:15], s[0:1], v19, s0, v[11:12]
	s_mov_b32 s0, 0xf534ddc0
	v_not_b32_e32 v18, 63
	v_mov_b32_e32 v11, v15
	v_mad_u64_u32 v[15:16], s[0:1], v19, s0, v[11:12]
	s_mov_b32 s0, 0xfc2757d1
	v_cmp_lt_u32_e32 vcc, 63, v9
	v_mov_b32_e32 v11, v16
	v_mad_u64_u32 v[16:17], s[0:1], v19, s0, v[11:12]
	v_cndmask_b32_e32 v11, 0, v18, vcc
	v_add_u32_e32 v9, v11, v9
	v_mov_b32_e32 v11, v17
	s_mov_b32 s0, 0x4e441529
	v_mad_u64_u32 v[17:18], s[0:1], v19, s0, v[11:12]
	v_not_b32_e32 v20, 31
	v_cmp_lt_u32_e64 s[0:1], 31, v9
	v_cndmask_b32_e64 v11, 0, v20, s[0:1]
	v_add_u32_e32 v9, v11, v9
	v_mov_b32_e32 v11, v18
	s_mov_b32 s2, 0xa2f9836e
	v_mad_u64_u32 v[11:12], s[2:3], v19, s2, v[11:12]
	v_cmp_lt_u32_e64 s[2:3], 31, v9
	v_cndmask_b32_e64 v18, 0, v20, s[2:3]
	v_add_u32_e32 v9, v18, v9
	v_cndmask_b32_e32 v18, v17, v15, vcc
	v_cndmask_b32_e32 v11, v11, v16, vcc
	;; [unrolled: 1-line block ×3, first 2 shown]
	v_cndmask_b32_e64 v19, v11, v18, s[0:1]
	v_cndmask_b32_e64 v11, v12, v11, s[0:1]
	v_cndmask_b32_e32 v12, v16, v14, vcc
	v_cndmask_b32_e64 v16, v18, v12, s[0:1]
	v_cndmask_b32_e64 v11, v11, v19, s[2:3]
	v_cndmask_b32_e64 v17, v19, v16, s[2:3]
	v_sub_u32_e32 v18, 32, v9
	v_alignbit_b32 v19, v11, v17, v18
	v_cmp_eq_u32_e64 s[4:5], 0, v9
	v_cndmask_b32_e64 v9, v19, v11, s[4:5]
	v_cndmask_b32_e32 v11, v15, v13, vcc
	v_cndmask_b32_e64 v12, v12, v11, s[0:1]
	v_cndmask_b32_e64 v13, v16, v12, s[2:3]
	v_alignbit_b32 v15, v17, v13, v18
	v_cndmask_b32_e32 v10, v14, v10, vcc
	v_cndmask_b32_e64 v15, v15, v17, s[4:5]
	v_bfe_u32 v19, v9, 29, 1
	v_cndmask_b32_e64 v10, v11, v10, s[0:1]
	v_alignbit_b32 v16, v9, v15, 30
	v_sub_u32_e32 v20, 0, v19
	v_cndmask_b32_e64 v10, v12, v10, s[2:3]
	v_xor_b32_e32 v16, v16, v20
	v_alignbit_b32 v11, v13, v10, v18
	v_cndmask_b32_e64 v11, v11, v13, s[4:5]
	v_ffbh_u32_e32 v13, v16
	v_alignbit_b32 v12, v15, v11, 30
	v_min_u32_e32 v13, 32, v13
	v_alignbit_b32 v10, v11, v10, 30
	v_xor_b32_e32 v12, v12, v20
	v_sub_u32_e32 v14, 31, v13
	v_xor_b32_e32 v10, v10, v20
	v_alignbit_b32 v15, v16, v12, v14
	v_alignbit_b32 v10, v12, v10, v14
	;; [unrolled: 1-line block ×3, first 2 shown]
	v_ffbh_u32_e32 v12, v11
	v_min_u32_e32 v12, 32, v12
	v_lshrrev_b32_e32 v17, 29, v9
	v_not_b32_e32 v14, v12
	v_alignbit_b32 v10, v11, v10, v14
	v_lshlrev_b32_e32 v11, 31, v17
	v_or_b32_e32 v14, 0x33000000, v11
	v_add_lshl_u32 v12, v12, v13, 23
	v_lshrrev_b32_e32 v10, 9, v10
	v_sub_u32_e32 v12, v14, v12
	v_or_b32_e32 v11, 0.5, v11
	v_lshlrev_b32_e32 v13, 23, v13
	v_or_b32_e32 v10, v12, v10
	v_lshrrev_b32_e32 v12, 9, v15
	v_sub_u32_e32 v11, v11, v13
	v_or_b32_e32 v11, v12, v11
	s_mov_b32 s0, 0x3fc90fda
	v_mul_f32_e32 v12, 0x3fc90fda, v11
	v_fma_f32 v13, v11, s0, -v12
	v_fmac_f32_e32 v13, 0x33a22168, v11
	v_fmac_f32_e32 v13, 0x3fc90fda, v10
	v_lshrrev_b32_e32 v9, 30, v9
	v_add_f32_e32 v10, v12, v13
	v_add_u32_e32 v11, v19, v9
	s_andn2_saveexec_b64 s[0:1], s[6:7]
	s_cbranch_execnz .LBB35_17
	s_branch .LBB35_18
.LBB35_16:
	s_andn2_saveexec_b64 s[0:1], s[6:7]
	s_cbranch_execz .LBB35_18
.LBB35_17:
	s_mov_b32 s2, 0x3f22f983
	v_mul_f32_e64 v9, |v5|, s2
	v_rndne_f32_e32 v9, v9
	s_mov_b32 s2, 0xbfc90fda
	v_cvt_i32_f32_e32 v11, v9
	v_fma_f32 v10, v9, s2, |v5|
	v_fmac_f32_e32 v10, 0xb3a22168, v9
	v_fmac_f32_e32 v10, 0xa7c234c4, v9
.LBB35_18:
	s_or_b64 exec, exec, s[0:1]
	v_lshlrev_b64 v[2:3], 2, v[2:3]
	v_mov_b32_e32 v9, s9
	v_add_co_u32_e32 v2, vcc, s8, v2
	v_addc_co_u32_e32 v3, vcc, v9, v3, vcc
	global_load_dwordx2 v[2:3], v[2:3], off
	v_mul_f32_e32 v9, v7, v7
	v_mov_b32_e32 v13, 0x3c0881c4
	v_mov_b32_e32 v16, 0xbab64f3b
	v_mov_b32_e32 v12, 0x3c0881c4
	v_mov_b32_e32 v14, 0xbe2aaa9d
	v_mov_b32_e32 v15, 0xbab64f3b
	v_mov_b32_e32 v17, 0x3d2aabf7
	v_mul_f32_e32 v19, v10, v10
	v_fmac_f32_e32 v13, 0xb94c1982, v9
	v_fmac_f32_e32 v16, 0x37d75334, v9
	v_mov_b32_e32 v18, 0xbf000004
	v_fmac_f32_e32 v12, 0xb94c1982, v19
	v_fma_f32 v13, v9, v13, v14
	v_fmac_f32_e32 v15, 0x37d75334, v19
	v_fma_f32 v16, v9, v16, v17
	v_fmac_f32_e32 v14, v19, v12
	v_and_b32_e32 v12, 1, v8
	v_fmac_f32_e32 v17, v19, v15
	v_fma_f32 v16, v9, v16, v18
	v_mul_f32_e32 v13, v9, v13
	v_lshlrev_b32_e32 v15, 30, v11
	v_and_b32_e32 v11, 1, v11
	v_fmac_f32_e32 v18, v19, v17
	v_mul_f32_e32 v14, v19, v14
	v_fmac_f32_e32 v7, v7, v13
	v_fma_f32 v9, v9, v16, 1.0
	v_cmp_eq_u32_e32 vcc, 0, v12
	v_xor_b32_e32 v4, v4, v5
	v_and_b32_e32 v15, 0x80000000, v15
	v_fmac_f32_e32 v10, v10, v14
	v_fma_f32 v13, v19, v18, 1.0
	v_cndmask_b32_e64 v7, -v7, v9, vcc
	v_cmp_eq_u32_e32 vcc, 0, v11
	v_lshlrev_b32_e32 v8, 30, v8
	s_movk_i32 s0, 0x1f8
	v_xor_b32_e32 v4, v4, v15
	v_cndmask_b32_e32 v9, v13, v10, vcc
	v_mov_b32_e32 v15, 0x7fc00000
	v_and_b32_e32 v8, 0x80000000, v8
	v_xor_b32_e32 v4, v4, v9
	v_cmp_class_f32_e64 vcc, v5, s0
	v_lshlrev_b64 v[0:1], 2, v[0:1]
	v_xor_b32_e32 v7, v8, v7
	v_cndmask_b32_e32 v4, v15, v4, vcc
	v_cndmask_b32_e32 v5, v15, v7, vcc
	v_mul_f32_e64 v4, v4, -v6
	v_mov_b32_e32 v17, s11
	v_mul_f32_e32 v7, v6, v5
	v_add_co_u32_e32 v0, vcc, s10, v0
	v_addc_co_u32_e32 v1, vcc, v17, v1, vcc
	s_waitcnt vmcnt(0)
	v_mul_f32_e32 v6, v3, v4
	v_mul_f32_e32 v5, v2, v4
	v_fma_f32 v4, v7, v2, -v6
	v_fmac_f32_e32 v5, v7, v3
	global_store_dwordx2 v[0:1], v[4:5], off
.LBB35_19:
	s_endpgm
	.section	.rodata,"a",@progbits
	.p2align	6, 0x0
	.amdhsa_kernel _ZL9rope_normILb0ELb1EffEvPKT1_PT2_iiiiiiiiiiPKifff14rope_corr_dimsfPKfPKli
		.amdhsa_group_segment_fixed_size 0
		.amdhsa_private_segment_fixed_size 0
		.amdhsa_kernarg_size 368
		.amdhsa_user_sgpr_count 6
		.amdhsa_user_sgpr_private_segment_buffer 1
		.amdhsa_user_sgpr_dispatch_ptr 0
		.amdhsa_user_sgpr_queue_ptr 0
		.amdhsa_user_sgpr_kernarg_segment_ptr 1
		.amdhsa_user_sgpr_dispatch_id 0
		.amdhsa_user_sgpr_flat_scratch_init 0
		.amdhsa_user_sgpr_private_segment_size 0
		.amdhsa_uses_dynamic_stack 0
		.amdhsa_system_sgpr_private_segment_wavefront_offset 0
		.amdhsa_system_sgpr_workgroup_id_x 1
		.amdhsa_system_sgpr_workgroup_id_y 1
		.amdhsa_system_sgpr_workgroup_id_z 0
		.amdhsa_system_sgpr_workgroup_info 0
		.amdhsa_system_vgpr_workitem_id 1
		.amdhsa_next_free_vgpr 21
		.amdhsa_next_free_sgpr 16
		.amdhsa_reserve_vcc 1
		.amdhsa_reserve_flat_scratch 0
		.amdhsa_float_round_mode_32 0
		.amdhsa_float_round_mode_16_64 0
		.amdhsa_float_denorm_mode_32 3
		.amdhsa_float_denorm_mode_16_64 3
		.amdhsa_dx10_clamp 1
		.amdhsa_ieee_mode 1
		.amdhsa_fp16_overflow 0
		.amdhsa_exception_fp_ieee_invalid_op 0
		.amdhsa_exception_fp_denorm_src 0
		.amdhsa_exception_fp_ieee_div_zero 0
		.amdhsa_exception_fp_ieee_overflow 0
		.amdhsa_exception_fp_ieee_underflow 0
		.amdhsa_exception_fp_ieee_inexact 0
		.amdhsa_exception_int_div_zero 0
	.end_amdhsa_kernel
	.section	.text._ZL9rope_normILb0ELb1EffEvPKT1_PT2_iiiiiiiiiiPKifff14rope_corr_dimsfPKfPKli,"axG",@progbits,_ZL9rope_normILb0ELb1EffEvPKT1_PT2_iiiiiiiiiiPKifff14rope_corr_dimsfPKfPKli,comdat
.Lfunc_end35:
	.size	_ZL9rope_normILb0ELb1EffEvPKT1_PT2_iiiiiiiiiiPKifff14rope_corr_dimsfPKfPKli, .Lfunc_end35-_ZL9rope_normILb0ELb1EffEvPKT1_PT2_iiiiiiiiiiPKifff14rope_corr_dimsfPKfPKli
                                        ; -- End function
	.set _ZL9rope_normILb0ELb1EffEvPKT1_PT2_iiiiiiiiiiPKifff14rope_corr_dimsfPKfPKli.num_vgpr, 21
	.set _ZL9rope_normILb0ELb1EffEvPKT1_PT2_iiiiiiiiiiPKifff14rope_corr_dimsfPKfPKli.num_agpr, 0
	.set _ZL9rope_normILb0ELb1EffEvPKT1_PT2_iiiiiiiiiiPKifff14rope_corr_dimsfPKfPKli.numbered_sgpr, 16
	.set _ZL9rope_normILb0ELb1EffEvPKT1_PT2_iiiiiiiiiiPKifff14rope_corr_dimsfPKfPKli.num_named_barrier, 0
	.set _ZL9rope_normILb0ELb1EffEvPKT1_PT2_iiiiiiiiiiPKifff14rope_corr_dimsfPKfPKli.private_seg_size, 0
	.set _ZL9rope_normILb0ELb1EffEvPKT1_PT2_iiiiiiiiiiPKifff14rope_corr_dimsfPKfPKli.uses_vcc, 1
	.set _ZL9rope_normILb0ELb1EffEvPKT1_PT2_iiiiiiiiiiPKifff14rope_corr_dimsfPKfPKli.uses_flat_scratch, 0
	.set _ZL9rope_normILb0ELb1EffEvPKT1_PT2_iiiiiiiiiiPKifff14rope_corr_dimsfPKfPKli.has_dyn_sized_stack, 0
	.set _ZL9rope_normILb0ELb1EffEvPKT1_PT2_iiiiiiiiiiPKifff14rope_corr_dimsfPKfPKli.has_recursion, 0
	.set _ZL9rope_normILb0ELb1EffEvPKT1_PT2_iiiiiiiiiiPKifff14rope_corr_dimsfPKfPKli.has_indirect_call, 0
	.section	.AMDGPU.csdata,"",@progbits
; Kernel info:
; codeLenInByte = 3800
; TotalNumSgprs: 20
; NumVgprs: 21
; ScratchSize: 0
; MemoryBound: 0
; FloatMode: 240
; IeeeMode: 1
; LDSByteSize: 0 bytes/workgroup (compile time only)
; SGPRBlocks: 2
; VGPRBlocks: 5
; NumSGPRsForWavesPerEU: 20
; NumVGPRsForWavesPerEU: 21
; Occupancy: 10
; WaveLimiterHint : 0
; COMPUTE_PGM_RSRC2:SCRATCH_EN: 0
; COMPUTE_PGM_RSRC2:USER_SGPR: 6
; COMPUTE_PGM_RSRC2:TRAP_HANDLER: 0
; COMPUTE_PGM_RSRC2:TGID_X_EN: 1
; COMPUTE_PGM_RSRC2:TGID_Y_EN: 1
; COMPUTE_PGM_RSRC2:TGID_Z_EN: 0
; COMPUTE_PGM_RSRC2:TIDIG_COMP_CNT: 1
	.section	.text._ZL9rope_normILb0ELb0Ef6__halfEvPKT1_PT2_iiiiiiiiiiPKifff14rope_corr_dimsfPKfPKli,"axG",@progbits,_ZL9rope_normILb0ELb0Ef6__halfEvPKT1_PT2_iiiiiiiiiiPKifff14rope_corr_dimsfPKfPKli,comdat
	.globl	_ZL9rope_normILb0ELb0Ef6__halfEvPKT1_PT2_iiiiiiiiiiPKifff14rope_corr_dimsfPKfPKli ; -- Begin function _ZL9rope_normILb0ELb0Ef6__halfEvPKT1_PT2_iiiiiiiiiiPKifff14rope_corr_dimsfPKfPKli
	.p2align	8
	.type	_ZL9rope_normILb0ELb0Ef6__halfEvPKT1_PT2_iiiiiiiiiiPKifff14rope_corr_dimsfPKfPKli,@function
_ZL9rope_normILb0ELb0Ef6__halfEvPKT1_PT2_iiiiiiiiiiPKifff14rope_corr_dimsfPKfPKli: ; @_ZL9rope_normILb0ELb0Ef6__halfEvPKT1_PT2_iiiiiiiiiiPKifff14rope_corr_dimsfPKfPKli
; %bb.0:
	s_load_dword s2, s[4:5], 0x7c
	s_load_dwordx8 s[8:15], s[4:5], 0x10
	s_add_u32 s0, s4, 0x70
	s_addc_u32 s1, s5, 0
	s_waitcnt lgkmcnt(0)
	s_lshr_b32 s2, s2, 16
	s_mul_i32 s7, s7, s2
	v_add_lshl_u32 v1, s7, v1, 1
	v_cmp_gt_i32_e32 vcc, s8, v1
	s_and_saveexec_b64 s[2:3], vcc
	s_cbranch_execz .LBB36_20
; %bb.1:
	s_mul_i32 s2, s10, s9
	s_abs_i32 s3, s2
	v_cvt_f32_u32_e32 v2, s3
	s_load_dword s0, s[0:1], 0xc
	s_sub_i32 s1, 0, s3
	v_cvt_f32_u32_e32 v3, s9
	v_rcp_iflag_f32_e32 v2, v2
	s_waitcnt lgkmcnt(0)
	s_and_b32 s0, s0, 0xffff
	s_mul_i32 s6, s6, s0
	v_mul_f32_e32 v2, 0x4f7ffffe, v2
	v_cvt_u32_f32_e32 v2, v2
	v_add_u32_e32 v5, s6, v0
	v_sub_u32_e32 v0, 0, v5
	v_max_i32_e32 v0, v5, v0
	v_mul_lo_u32 v4, s1, v2
	v_rcp_iflag_f32_e32 v3, v3
	s_sub_i32 s0, 0, s9
	v_xor_b32_e32 v6, s2, v5
	v_mul_hi_u32 v4, v2, v4
	v_mul_f32_e32 v3, 0x4f7ffffe, v3
	v_cvt_u32_f32_e32 v3, v3
	v_ashrrev_i32_e32 v6, 31, v6
	v_add_u32_e32 v2, v2, v4
	v_mul_hi_u32 v2, v0, v2
	v_mul_lo_u32 v4, s0, v3
	s_load_dwordx2 s[0:1], s[4:5], 0x30
	v_mul_lo_u32 v7, v2, s3
	v_add_u32_e32 v8, 1, v2
	v_mul_hi_u32 v4, v3, v4
	v_sub_u32_e32 v0, v0, v7
	v_cmp_le_u32_e32 vcc, s3, v0
	v_subrev_u32_e32 v7, s3, v0
	v_cndmask_b32_e32 v2, v2, v8, vcc
	v_cndmask_b32_e32 v0, v0, v7, vcc
	v_add_u32_e32 v7, 1, v2
	v_cmp_le_u32_e32 vcc, s3, v0
	v_cndmask_b32_e32 v0, v2, v7, vcc
	v_xor_b32_e32 v0, v0, v6
	v_sub_u32_e32 v0, v0, v6
	v_mul_lo_u32 v2, s2, v0
	v_add_u32_e32 v3, v3, v4
	s_load_dword s2, s[4:5], 0x68
	v_sub_u32_e32 v4, v5, v2
	v_mul_hi_u32 v2, v4, v3
	s_waitcnt lgkmcnt(0)
	s_cmp_eq_u32 s2, 0
	v_mul_lo_u32 v3, v2, s9
	v_add_u32_e32 v5, 1, v2
	v_sub_u32_e32 v3, v4, v3
	v_cmp_le_u32_e32 vcc, s9, v3
	v_cndmask_b32_e32 v2, v2, v5, vcc
	v_subrev_u32_e32 v5, s9, v3
	v_cndmask_b32_e32 v3, v3, v5, vcc
	v_add_u32_e32 v5, 1, v2
	v_cmp_le_u32_e32 vcc, s9, v3
	v_cndmask_b32_e32 v5, v2, v5, vcc
	s_cbranch_scc1 .LBB36_3
; %bb.2:
	s_load_dwordx2 s[6:7], s[4:5], 0x60
	v_mov_b32_e32 v6, 0
	v_lshlrev_b64 v[2:3], 3, v[5:6]
	s_waitcnt lgkmcnt(0)
	v_mov_b32_e32 v6, s7
	v_add_co_u32_e32 v2, vcc, s6, v2
	v_addc_co_u32_e32 v3, vcc, v6, v3, vcc
	global_load_dword v2, v[2:3], off
	s_waitcnt vmcnt(0)
	v_mul_lo_u32 v2, s2, v2
	s_branch .LBB36_4
.LBB36_3:
	v_mul_lo_u32 v2, v0, s0
	v_mad_u64_u32 v[2:3], s[2:3], v5, s15, v[2:3]
.LBB36_4:
	v_mul_lo_u32 v3, v5, s9
	v_mad_u64_u32 v[6:7], s[2:3], v0, s13, v[1:2]
	v_mul_lo_u32 v8, v5, s12
	v_sub_u32_e32 v0, v4, v3
	v_mul_lo_u32 v3, v0, s11
	s_load_dwordx4 s[8:11], s[4:5], 0x0
	v_cmp_le_i32_e32 vcc, s1, v1
	v_add3_u32 v3, v6, v8, v3
	v_ashrrev_i32_e32 v4, 31, v3
                                        ; implicit-def: $vgpr7
	s_and_saveexec_b64 s[0:1], vcc
	s_xor_b64 s[0:1], exec, s[0:1]
	s_cbranch_execz .LBB36_6
; %bb.5:
	v_lshlrev_b64 v[3:4], 2, v[3:4]
	s_waitcnt lgkmcnt(0)
	v_mov_b32_e32 v5, s9
	v_add_co_u32_e32 v3, vcc, s8, v3
	v_addc_co_u32_e32 v4, vcc, v5, v4, vcc
	global_load_dwordx2 v[6:7], v[3:4], off
                                        ; implicit-def: $vgpr3
                                        ; implicit-def: $vgpr5
.LBB36_6:
	s_andn2_saveexec_b64 s[6:7], s[0:1]
	s_cbranch_execz .LBB36_19
; %bb.7:
	s_load_dwordx2 s[0:1], s[4:5], 0x38
	s_waitcnt vmcnt(0)
	v_mov_b32_e32 v6, 0
	v_lshlrev_b64 v[5:6], 2, v[5:6]
	v_mov_b32_e32 v10, 0x3e91f4c4
	v_mov_b32_e32 v11, 0x3ecccdef
	s_waitcnt lgkmcnt(0)
	v_mov_b32_e32 v7, s1
	v_add_co_u32_e32 v5, vcc, s0, v5
	v_addc_co_u32_e32 v6, vcc, v7, v6, vcc
	global_load_dword v7, v[5:6], off
	s_load_dwordx4 s[16:19], s[4:5], 0x40
	s_load_dwordx2 s[12:13], s[4:5], 0x50
	v_cvt_f32_i32_e32 v5, v1
	s_mov_b32 s0, 0x3f2aaaab
	s_mov_b32 s1, 0x3f317218
	s_movk_i32 s5, 0x204
	v_mul_f32_e32 v5, 0.5, v5
	s_waitcnt lgkmcnt(0)
	v_cmp_neq_f32_e64 vcc, s13, 1.0
	v_cndmask_b32_e32 v6, 1.0, v5, vcc
	v_mov_b32_e32 v5, s13
	v_cmp_neq_f32_e32 vcc, 0, v6
	v_cndmask_b32_e32 v5, 1.0, v5, vcc
	v_frexp_mant_f32_e64 v12, |v5|
	v_cmp_gt_f32_e32 vcc, s0, v12
	v_cndmask_b32_e64 v13, 1.0, 2.0, vcc
	v_mul_f32_e32 v12, v12, v13
	v_add_f32_e32 v14, 1.0, v12
	v_cvt_f64_f32_e64 v[8:9], |v5|
	v_rcp_f32_e32 v15, v14
	v_add_f32_e32 v13, -1.0, v12
	v_add_f32_e32 v16, -1.0, v14
	v_frexp_exp_i32_f64_e32 v8, v[8:9]
	v_sub_f32_e32 v9, v12, v16
	v_mul_f32_e32 v12, v13, v15
	v_mul_f32_e32 v16, v14, v12
	v_fma_f32 v14, v12, v14, -v16
	v_fmac_f32_e32 v14, v12, v9
	v_add_f32_e32 v9, v16, v14
	v_sub_f32_e32 v17, v13, v9
	v_sub_f32_e32 v16, v9, v16
	;; [unrolled: 1-line block ×5, first 2 shown]
	v_add_f32_e32 v9, v14, v9
	v_add_f32_e32 v9, v17, v9
	v_mul_f32_e32 v9, v15, v9
	v_add_f32_e32 v14, v12, v9
	v_sub_f32_e32 v12, v14, v12
	v_mul_f32_e32 v15, v14, v14
	v_sub_f32_e32 v9, v9, v12
	v_fma_f32 v12, v14, v14, -v15
	v_add_f32_e32 v16, v9, v9
	v_fmac_f32_e32 v12, v14, v16
	v_add_f32_e32 v16, v15, v12
	v_fmac_f32_e32 v10, 0x3e76c4e1, v16
	v_sub_f32_e32 v15, v16, v15
	v_mul_f32_e32 v17, v14, v16
	v_fmac_f32_e32 v11, v16, v10
	v_sub_f32_e32 v10, v12, v15
	v_fma_f32 v12, v16, v14, -v17
	v_fmac_f32_e32 v12, v16, v9
	v_mul_f32_e32 v15, v16, v11
	v_fmac_f32_e32 v12, v10, v14
	v_fma_f32 v16, v16, v11, -v15
	v_add_f32_e32 v18, v17, v12
	v_fmac_f32_e32 v16, v10, v11
	v_sub_f32_e32 v10, v18, v17
	v_add_f32_e32 v11, v15, v16
	v_sub_f32_e32 v10, v12, v10
	v_add_f32_e32 v12, 0x3f2aaaaa, v11
	v_sub_f32_e32 v15, v11, v15
	v_sub_f32_e32 v15, v16, v15
	v_add_f32_e32 v16, 0xbf2aaaaa, v12
	v_subbrev_co_u32_e32 v8, vcc, 0, v8, vcc
	v_add_f32_e32 v15, 0x31739010, v15
	v_sub_f32_e32 v11, v11, v16
	v_cvt_f32_i32_e32 v8, v8
	v_add_f32_e32 v11, v15, v11
	v_add_f32_e32 v15, v12, v11
	v_sub_f32_e32 v12, v12, v15
	v_mul_f32_e32 v16, v18, v15
	v_add_f32_e32 v11, v11, v12
	v_fma_f32 v12, v18, v15, -v16
	v_mul_f32_e32 v13, 0x3f317218, v8
	v_fmac_f32_e32 v12, v18, v11
	v_fmac_f32_e32 v12, v10, v15
	v_fma_f32 v10, v8, s1, -v13
	v_fmac_f32_e32 v10, 0xb102e308, v8
	v_add_f32_e32 v11, v13, v10
	v_sub_f32_e32 v13, v11, v13
	v_sub_f32_e32 v10, v10, v13
	v_add_f32_e32 v13, v16, v12
	v_ldexp_f32 v8, v9, 1
	v_ldexp_f32 v9, v14, 1
	v_sub_f32_e32 v14, v13, v16
	v_sub_f32_e32 v12, v12, v14
	v_add_f32_e32 v14, v9, v13
	v_sub_f32_e32 v9, v14, v9
	v_sub_f32_e32 v9, v13, v9
	v_add_f32_e32 v8, v8, v12
	v_add_f32_e32 v8, v8, v9
	;; [unrolled: 1-line block ×3, first 2 shown]
	v_sub_f32_e32 v12, v9, v14
	v_sub_f32_e32 v8, v8, v12
	v_add_f32_e32 v12, v11, v9
	v_sub_f32_e32 v13, v12, v11
	v_sub_f32_e32 v14, v12, v13
	;; [unrolled: 1-line block ×4, first 2 shown]
	v_add_f32_e32 v9, v9, v11
	v_add_f32_e32 v11, v10, v8
	v_sub_f32_e32 v13, v11, v10
	v_sub_f32_e32 v14, v11, v13
	;; [unrolled: 1-line block ×4, first 2 shown]
	v_add_f32_e32 v9, v11, v9
	v_add_f32_e32 v8, v8, v10
	;; [unrolled: 1-line block ×3, first 2 shown]
	v_sub_f32_e32 v11, v10, v12
	v_sub_f32_e32 v9, v9, v11
	v_add_f32_e32 v8, v8, v9
	v_add_f32_e32 v9, v10, v8
	v_sub_f32_e32 v10, v9, v10
	v_sub_f32_e32 v8, v8, v10
	v_mul_f32_e32 v10, v6, v9
	v_fma_f32 v9, v6, v9, -v10
	v_fmac_f32_e32 v9, v6, v8
	v_add_f32_e32 v8, v10, v9
	v_cmp_class_f32_e64 vcc, v10, s5
	v_sub_f32_e32 v11, v8, v10
	v_cndmask_b32_e32 v8, v8, v10, vcc
	s_mov_b32 s0, 0x42b17218
	v_mov_b32_e32 v10, 0x37000000
	v_cmp_eq_f32_e32 vcc, s0, v8
	v_cndmask_b32_e32 v10, 0, v10, vcc
	v_sub_f32_e32 v9, v9, v11
	v_sub_f32_e32 v11, v8, v10
	s_mov_b32 s1, 0x3fb8aa3b
	v_mul_f32_e32 v12, 0x3fb8aa3b, v11
	v_fma_f32 v13, v11, s1, -v12
	v_rndne_f32_e32 v14, v12
	v_fmac_f32_e32 v13, 0x32a5705f, v11
	v_sub_f32_e32 v12, v12, v14
	v_add_f32_e32 v12, v12, v13
	v_exp_f32_e32 v12, v12
	v_cvt_i32_f32_e32 v13, v14
	s_mov_b32 s4, 0x7f800000
	v_cmp_neq_f32_e64 vcc, |v8|, s4
	s_mov_b32 s1, 0xc2ce8ed0
	v_cndmask_b32_e32 v8, 0, v9, vcc
	v_ldexp_f32 v9, v12, v13
	v_cmp_ngt_f32_e32 vcc, s1, v11
	v_add_f32_e32 v8, v10, v8
	v_cndmask_b32_e32 v9, 0, v9, vcc
	v_mov_b32_e32 v10, 0x7f800000
	v_cmp_nlt_f32_e32 vcc, s0, v11
	v_cndmask_b32_e32 v9, v10, v9, vcc
	v_fma_f32 v8, v9, v8, v9
	v_cmp_class_f32_e64 vcc, v9, s5
	v_cndmask_b32_e32 v8, v8, v9, vcc
	v_trunc_f32_e32 v9, v6
	v_cmp_eq_f32_e32 vcc, v9, v6
	v_mul_f32_e32 v9, 0.5, v6
	v_trunc_f32_e32 v12, v9
	v_cmp_neq_f32_e64 s[0:1], v12, v9
	s_and_b64 s[0:1], vcc, s[0:1]
	v_cndmask_b32_e64 v9, 1.0, v5, s[0:1]
	s_brev_b32 s13, -2
	v_mov_b32_e32 v11, 0x7fc00000
	v_bfi_b32 v8, s13, v8, v9
	v_cmp_neq_f32_e64 s[2:3], v6, |v6|
	v_cmp_lt_f32_e64 s[20:21], |v5|, 1.0
	v_cndmask_b32_e32 v9, v11, v8, vcc
	v_cmp_gt_f32_e32 vcc, 0, v5
	s_xor_b64 s[2:3], s[2:3], s[20:21]
	v_cndmask_b32_e32 v8, v8, v9, vcc
	v_cndmask_b32_e64 v9, v10, 0, s[2:3]
	v_cmp_neq_f32_e64 vcc, |v5|, 1.0
	v_cndmask_b32_e32 v9, 1.0, v9, vcc
	v_cmp_class_f32_e64 vcc, v6, s5
	v_cndmask_b32_e32 v8, v8, v9, vcc
	v_cmp_eq_f32_e32 vcc, 0, v5
	v_cmp_gt_f32_e64 s[2:3], 0, v6
	s_xor_b64 s[2:3], s[2:3], vcc
	s_waitcnt vmcnt(0)
	v_cvt_f32_i32_e32 v7, v7
	v_cmp_class_f32_e64 s[20:21], v5, s5
	v_cndmask_b32_e64 v6, v10, 0, s[2:3]
	v_cndmask_b32_e64 v9, 0, v5, s[0:1]
	v_bfi_b32 v6, s13, v6, v9
	s_or_b64 vcc, vcc, s[20:21]
	v_cndmask_b32_e32 v6, v8, v6, vcc
	v_cmp_o_f32_e32 vcc, v5, v5
	v_cndmask_b32_e32 v5, v11, v6, vcc
	v_mul_f32_e32 v7, v5, v7
	v_cmp_eq_f32_e64 s[0:1], s17, 0
	v_mul_f32_e32 v5, s16, v7
	s_and_b64 vcc, exec, s[0:1]
	s_cbranch_vccnz .LBB36_9
; %bb.8:
	v_ashrrev_i32_e32 v6, 1, v1
	v_cvt_f32_i32_e32 v6, v6
	v_div_scale_f32 v9, s[0:1], s16, s16, 1.0
	v_mov_b32_e32 v8, s19
	v_sub_f32_e32 v8, s12, v8
	v_subrev_f32_e32 v6, s19, v6
	v_max_f32_e32 v8, 0x3a83126f, v8
	v_div_scale_f32 v10, s[0:1], v8, v8, v6
	v_div_scale_f32 v11, s[0:1], 1.0, s16, 1.0
	v_div_scale_f32 v12, vcc, v6, v8, v6
	s_mov_b32 s2, 0x3f317217
	v_rcp_f32_e32 v13, v9
	v_fma_f32 v14, -v9, v13, 1.0
	v_fmac_f32_e32 v13, v14, v13
	v_rcp_f32_e32 v14, v10
	v_mul_f32_e32 v15, v11, v13
	v_fma_f32 v16, -v9, v15, v11
	v_fmac_f32_e32 v15, v16, v13
	v_fma_f32 v9, -v9, v15, v11
	v_fma_f32 v11, -v10, v14, 1.0
	v_fmac_f32_e32 v14, v11, v14
	v_mul_f32_e32 v11, v12, v14
	v_fma_f32 v16, -v10, v11, v12
	v_fmac_f32_e32 v11, v16, v14
	v_fma_f32 v10, -v10, v11, v12
	v_div_fmas_f32 v10, v10, v14, v11
	s_mov_b64 vcc, s[0:1]
	v_div_fmas_f32 v9, v9, v13, v15
	s_mov_b32 s0, 0x800000
	v_mov_b32_e32 v11, 0x41b17218
	v_div_fixup_f32 v6, v10, v8, v6 clamp
	v_sub_f32_e32 v6, 1.0, v6
	v_div_fixup_f32 v8, v9, s16, 1.0
	v_cmp_gt_f32_e32 vcc, s0, v8
	s_and_b64 s[0:1], vcc, exec
	s_cselect_b32 s0, 32, 0
	v_ldexp_f32 v8, v8, s0
	v_log_f32_e32 v8, v8
	v_mul_f32_e32 v9, s17, v6
	v_fma_f32 v6, -s17, v6, 1.0
	v_mul_f32_e32 v5, v6, v5
	v_mul_f32_e32 v6, 0x3f317217, v8
	v_fma_f32 v6, v8, s2, -v6
	v_fmac_f32_e32 v6, 0x3377d1cf, v8
	v_cndmask_b32_e32 v10, 0, v11, vcc
	v_fmac_f32_e32 v6, 0x3f317217, v8
	v_cmp_lt_f32_e64 vcc, |v8|, s4
	v_cndmask_b32_e32 v6, v8, v6, vcc
	v_sub_f32_e32 v6, v6, v10
	s_mov_b32 s0, 0x3dcccccd
	v_fma_f32 v6, v6, s0, 1.0
	v_fmac_f32_e32 v5, v9, v7
	v_mul_f32_e32 v6, s18, v6
	s_branch .LBB36_10
.LBB36_9:
	v_mov_b32_e32 v6, s18
.LBB36_10:
	v_and_b32_e32 v7, 0x7fffffff, v5
	s_brev_b32 s0, 18
	v_cmp_nlt_f32_e64 s[12:13], |v5|, s0
	v_lshrrev_b32_e32 v10, 23, v7
                                        ; implicit-def: $vgpr9
                                        ; implicit-def: $vgpr8
	s_and_saveexec_b64 s[0:1], s[12:13]
	s_xor_b64 s[16:17], exec, s[0:1]
	s_cbranch_execz .LBB36_12
; %bb.11:
	v_and_b32_e32 v8, 0x7fffff, v7
	v_or_b32_e32 v19, 0x800000, v8
	s_mov_b32 s0, 0xfe5163ab
	v_mad_u64_u32 v[8:9], s[0:1], v19, s0, 0
	v_mov_b32_e32 v12, 0
	s_mov_b32 s0, 0x3c439041
	v_mov_b32_e32 v11, v9
	v_mad_u64_u32 v[13:14], s[0:1], v19, s0, v[11:12]
	s_mov_b32 s0, 0xdb629599
	v_add_u32_e32 v9, 0xffffff88, v10
	v_mov_b32_e32 v11, v14
	v_mad_u64_u32 v[14:15], s[0:1], v19, s0, v[11:12]
	s_mov_b32 s0, 0xf534ddc0
	v_not_b32_e32 v18, 63
	v_mov_b32_e32 v11, v15
	v_mad_u64_u32 v[15:16], s[0:1], v19, s0, v[11:12]
	s_mov_b32 s0, 0xfc2757d1
	v_cmp_lt_u32_e32 vcc, 63, v9
	v_mov_b32_e32 v11, v16
	v_mad_u64_u32 v[16:17], s[0:1], v19, s0, v[11:12]
	v_cndmask_b32_e32 v11, 0, v18, vcc
	v_add_u32_e32 v9, v11, v9
	v_mov_b32_e32 v11, v17
	s_mov_b32 s0, 0x4e441529
	v_mad_u64_u32 v[17:18], s[0:1], v19, s0, v[11:12]
	v_not_b32_e32 v20, 31
	v_cmp_lt_u32_e64 s[0:1], 31, v9
	v_cndmask_b32_e64 v11, 0, v20, s[0:1]
	v_add_u32_e32 v9, v11, v9
	v_mov_b32_e32 v11, v18
	s_mov_b32 s2, 0xa2f9836e
	v_mad_u64_u32 v[11:12], s[2:3], v19, s2, v[11:12]
	v_cmp_lt_u32_e64 s[2:3], 31, v9
	v_cndmask_b32_e64 v18, 0, v20, s[2:3]
	v_add_u32_e32 v9, v18, v9
	v_cndmask_b32_e32 v18, v17, v15, vcc
	v_cndmask_b32_e32 v11, v11, v16, vcc
	;; [unrolled: 1-line block ×3, first 2 shown]
	v_cndmask_b32_e64 v19, v11, v18, s[0:1]
	v_cndmask_b32_e64 v11, v12, v11, s[0:1]
	v_cndmask_b32_e32 v12, v16, v14, vcc
	v_cndmask_b32_e64 v16, v18, v12, s[0:1]
	v_cndmask_b32_e64 v11, v11, v19, s[2:3]
	v_cndmask_b32_e64 v17, v19, v16, s[2:3]
	v_sub_u32_e32 v18, 32, v9
	v_alignbit_b32 v19, v11, v17, v18
	v_cmp_eq_u32_e64 s[4:5], 0, v9
	v_cndmask_b32_e64 v9, v19, v11, s[4:5]
	v_cndmask_b32_e32 v11, v15, v13, vcc
	v_cndmask_b32_e64 v12, v12, v11, s[0:1]
	v_cndmask_b32_e64 v13, v16, v12, s[2:3]
	v_alignbit_b32 v15, v17, v13, v18
	v_cndmask_b32_e32 v8, v14, v8, vcc
	v_cndmask_b32_e64 v15, v15, v17, s[4:5]
	v_bfe_u32 v19, v9, 29, 1
	v_cndmask_b32_e64 v8, v11, v8, s[0:1]
	v_alignbit_b32 v16, v9, v15, 30
	v_sub_u32_e32 v20, 0, v19
	v_cndmask_b32_e64 v8, v12, v8, s[2:3]
	v_xor_b32_e32 v16, v16, v20
	v_alignbit_b32 v11, v13, v8, v18
	v_cndmask_b32_e64 v11, v11, v13, s[4:5]
	v_ffbh_u32_e32 v13, v16
	v_alignbit_b32 v12, v15, v11, 30
	v_min_u32_e32 v13, 32, v13
	v_alignbit_b32 v8, v11, v8, 30
	v_xor_b32_e32 v12, v12, v20
	v_sub_u32_e32 v14, 31, v13
	v_xor_b32_e32 v8, v8, v20
	v_alignbit_b32 v15, v16, v12, v14
	v_alignbit_b32 v8, v12, v8, v14
	;; [unrolled: 1-line block ×3, first 2 shown]
	v_ffbh_u32_e32 v12, v11
	v_min_u32_e32 v12, 32, v12
	v_lshrrev_b32_e32 v17, 29, v9
	v_not_b32_e32 v14, v12
	v_alignbit_b32 v8, v11, v8, v14
	v_lshlrev_b32_e32 v11, 31, v17
	v_or_b32_e32 v14, 0x33000000, v11
	v_add_lshl_u32 v12, v12, v13, 23
	v_lshrrev_b32_e32 v8, 9, v8
	v_sub_u32_e32 v12, v14, v12
	v_or_b32_e32 v11, 0.5, v11
	v_lshlrev_b32_e32 v13, 23, v13
	v_or_b32_e32 v8, v12, v8
	v_lshrrev_b32_e32 v12, 9, v15
	v_sub_u32_e32 v11, v11, v13
	v_or_b32_e32 v11, v12, v11
	s_mov_b32 s0, 0x3fc90fda
	v_mul_f32_e32 v12, 0x3fc90fda, v11
	v_fma_f32 v13, v11, s0, -v12
	v_fmac_f32_e32 v13, 0x33a22168, v11
	v_fmac_f32_e32 v13, 0x3fc90fda, v8
	v_lshrrev_b32_e32 v9, 30, v9
	v_add_f32_e32 v8, v12, v13
	v_add_u32_e32 v9, v19, v9
	s_andn2_saveexec_b64 s[0:1], s[16:17]
	s_cbranch_execz .LBB36_14
	s_branch .LBB36_13
.LBB36_12:
	s_andn2_saveexec_b64 s[0:1], s[16:17]
	s_cbranch_execz .LBB36_14
.LBB36_13:
	s_mov_b32 s2, 0x3f22f983
	v_mul_f32_e64 v8, |v5|, s2
	v_rndne_f32_e32 v11, v8
	s_mov_b32 s2, 0xbfc90fda
	v_cvt_i32_f32_e32 v9, v11
	v_fma_f32 v8, v11, s2, |v5|
	v_fmac_f32_e32 v8, 0xb3a22168, v11
	v_fmac_f32_e32 v8, 0xa7c234c4, v11
.LBB36_14:
	s_or_b64 exec, exec, s[0:1]
                                        ; implicit-def: $vgpr12
                                        ; implicit-def: $vgpr11
	s_and_saveexec_b64 s[0:1], s[12:13]
	s_xor_b64 s[12:13], exec, s[0:1]
	s_cbranch_execz .LBB36_16
; %bb.15:
	v_and_b32_e32 v11, 0x7fffff, v7
	v_or_b32_e32 v20, 0x800000, v11
	s_mov_b32 s0, 0xfe5163ab
	v_mad_u64_u32 v[11:12], s[0:1], v20, s0, 0
	v_mov_b32_e32 v13, 0
	s_mov_b32 s0, 0x3c439041
	v_mad_u64_u32 v[14:15], s[0:1], v20, s0, v[12:13]
	s_mov_b32 s0, 0xdb629599
	v_add_u32_e32 v10, 0xffffff88, v10
	v_mov_b32_e32 v12, v15
	v_mad_u64_u32 v[15:16], s[0:1], v20, s0, v[12:13]
	s_mov_b32 s0, 0xf534ddc0
	v_not_b32_e32 v19, 63
	v_mov_b32_e32 v12, v16
	v_mad_u64_u32 v[16:17], s[0:1], v20, s0, v[12:13]
	s_mov_b32 s0, 0xfc2757d1
	v_cmp_lt_u32_e32 vcc, 63, v10
	v_mov_b32_e32 v12, v17
	v_mad_u64_u32 v[17:18], s[0:1], v20, s0, v[12:13]
	v_cndmask_b32_e32 v12, 0, v19, vcc
	v_add_u32_e32 v10, v12, v10
	v_mov_b32_e32 v12, v18
	s_mov_b32 s0, 0x4e441529
	v_mad_u64_u32 v[18:19], s[0:1], v20, s0, v[12:13]
	v_not_b32_e32 v21, 31
	v_cmp_lt_u32_e64 s[0:1], 31, v10
	v_cndmask_b32_e64 v12, 0, v21, s[0:1]
	v_add_u32_e32 v10, v12, v10
	v_mov_b32_e32 v12, v19
	s_mov_b32 s2, 0xa2f9836e
	v_mad_u64_u32 v[12:13], s[2:3], v20, s2, v[12:13]
	v_cmp_lt_u32_e64 s[2:3], 31, v10
	v_cndmask_b32_e64 v19, 0, v21, s[2:3]
	v_add_u32_e32 v10, v19, v10
	v_cndmask_b32_e32 v19, v18, v16, vcc
	v_cndmask_b32_e32 v12, v12, v17, vcc
	;; [unrolled: 1-line block ×3, first 2 shown]
	v_cndmask_b32_e64 v20, v12, v19, s[0:1]
	v_cndmask_b32_e64 v12, v13, v12, s[0:1]
	v_cndmask_b32_e32 v13, v17, v15, vcc
	v_cndmask_b32_e64 v17, v19, v13, s[0:1]
	v_cndmask_b32_e64 v12, v12, v20, s[2:3]
	v_cndmask_b32_e64 v18, v20, v17, s[2:3]
	v_sub_u32_e32 v19, 32, v10
	v_alignbit_b32 v20, v12, v18, v19
	v_cmp_eq_u32_e64 s[4:5], 0, v10
	v_cndmask_b32_e64 v10, v20, v12, s[4:5]
	v_cndmask_b32_e32 v12, v16, v14, vcc
	v_cndmask_b32_e64 v13, v13, v12, s[0:1]
	v_cndmask_b32_e64 v14, v17, v13, s[2:3]
	v_alignbit_b32 v16, v18, v14, v19
	v_cndmask_b32_e32 v11, v15, v11, vcc
	v_cndmask_b32_e64 v16, v16, v18, s[4:5]
	v_bfe_u32 v20, v10, 29, 1
	v_cndmask_b32_e64 v11, v12, v11, s[0:1]
	v_alignbit_b32 v17, v10, v16, 30
	v_sub_u32_e32 v21, 0, v20
	v_cndmask_b32_e64 v11, v13, v11, s[2:3]
	v_xor_b32_e32 v17, v17, v21
	v_alignbit_b32 v12, v14, v11, v19
	v_cndmask_b32_e64 v12, v12, v14, s[4:5]
	v_ffbh_u32_e32 v14, v17
	v_alignbit_b32 v13, v16, v12, 30
	v_min_u32_e32 v14, 32, v14
	v_alignbit_b32 v11, v12, v11, 30
	v_xor_b32_e32 v13, v13, v21
	v_sub_u32_e32 v15, 31, v14
	v_xor_b32_e32 v11, v11, v21
	v_alignbit_b32 v16, v17, v13, v15
	v_alignbit_b32 v11, v13, v11, v15
	;; [unrolled: 1-line block ×3, first 2 shown]
	v_ffbh_u32_e32 v13, v12
	v_min_u32_e32 v13, 32, v13
	v_lshrrev_b32_e32 v18, 29, v10
	v_not_b32_e32 v15, v13
	v_alignbit_b32 v11, v12, v11, v15
	v_lshlrev_b32_e32 v12, 31, v18
	v_or_b32_e32 v15, 0x33000000, v12
	v_add_lshl_u32 v13, v13, v14, 23
	v_lshrrev_b32_e32 v11, 9, v11
	v_sub_u32_e32 v13, v15, v13
	v_or_b32_e32 v12, 0.5, v12
	v_lshlrev_b32_e32 v14, 23, v14
	v_or_b32_e32 v11, v13, v11
	v_lshrrev_b32_e32 v13, 9, v16
	v_sub_u32_e32 v12, v12, v14
	v_or_b32_e32 v12, v13, v12
	s_mov_b32 s0, 0x3fc90fda
	v_mul_f32_e32 v13, 0x3fc90fda, v12
	v_fma_f32 v14, v12, s0, -v13
	v_fmac_f32_e32 v14, 0x33a22168, v12
	v_fmac_f32_e32 v14, 0x3fc90fda, v11
	v_lshrrev_b32_e32 v10, 30, v10
	v_add_f32_e32 v11, v13, v14
	v_add_u32_e32 v12, v20, v10
	s_andn2_saveexec_b64 s[0:1], s[12:13]
	s_cbranch_execnz .LBB36_17
	s_branch .LBB36_18
.LBB36_16:
	s_andn2_saveexec_b64 s[0:1], s[12:13]
	s_cbranch_execz .LBB36_18
.LBB36_17:
	s_mov_b32 s2, 0x3f22f983
	v_mul_f32_e64 v10, |v5|, s2
	v_rndne_f32_e32 v10, v10
	s_mov_b32 s2, 0xbfc90fda
	v_cvt_i32_f32_e32 v12, v10
	v_fma_f32 v11, v10, s2, |v5|
	v_fmac_f32_e32 v11, 0xb3a22168, v10
	v_fmac_f32_e32 v11, 0xa7c234c4, v10
.LBB36_18:
	s_or_b64 exec, exec, s[0:1]
	v_lshlrev_b64 v[3:4], 2, v[3:4]
	v_mov_b32_e32 v10, s9
	v_add_co_u32_e32 v3, vcc, s8, v3
	v_addc_co_u32_e32 v4, vcc, v10, v4, vcc
	global_load_dwordx2 v[3:4], v[3:4], off
	v_mul_f32_e32 v10, v8, v8
	v_mov_b32_e32 v13, 0x3c0881c4
	v_mov_b32_e32 v14, 0x3c0881c4
	v_mul_f32_e32 v22, v11, v11
	v_mov_b32_e32 v15, 0xbe2aaa9d
	v_mov_b32_e32 v17, 0xbab64f3b
	v_fmac_f32_e32 v14, 0xb94c1982, v10
	v_fmac_f32_e32 v13, 0xb94c1982, v22
	v_mov_b32_e32 v16, 0xbab64f3b
	v_mov_b32_e32 v18, 0x3d2aabf7
	v_fma_f32 v14, v10, v14, v15
	v_fmac_f32_e32 v15, v22, v13
	v_and_b32_e32 v13, 1, v12
	v_lshlrev_b32_e32 v12, 30, v12
	v_fmac_f32_e32 v17, 0x37d75334, v10
	v_mov_b32_e32 v19, 0xbf000004
	v_xor_b32_e32 v7, v7, v5
	v_fmac_f32_e32 v16, 0x37d75334, v22
	v_and_b32_e32 v12, 0x80000000, v12
	v_fma_f32 v17, v10, v17, v18
	v_and_b32_e32 v20, 1, v9
	v_fmac_f32_e32 v18, v22, v16
	v_xor_b32_e32 v7, v7, v12
	v_mul_f32_e32 v12, v10, v14
	v_fma_f32 v14, v10, v17, v19
	v_mul_f32_e32 v15, v22, v15
	v_fmac_f32_e32 v19, v22, v18
	v_fmac_f32_e32 v8, v8, v12
	v_fma_f32 v10, v10, v14, 1.0
	v_cmp_eq_u32_e32 vcc, 0, v20
	v_lshlrev_b32_e32 v9, 30, v9
	v_fmac_f32_e32 v11, v11, v15
	v_fma_f32 v12, v22, v19, 1.0
	v_cndmask_b32_e64 v8, -v8, v10, vcc
	v_cmp_eq_u32_e32 vcc, 0, v13
	s_movk_i32 s0, 0x1f8
	v_and_b32_e32 v9, 0x80000000, v9
	v_cndmask_b32_e32 v10, v12, v11, vcc
	v_mov_b32_e32 v21, 0x7fc00000
	v_xor_b32_e32 v8, v9, v8
	v_xor_b32_e32 v7, v7, v10
	v_cmp_class_f32_e64 vcc, v5, s0
	v_cndmask_b32_e32 v5, v21, v8, vcc
	v_cndmask_b32_e32 v7, v21, v7, vcc
	v_mul_f32_e32 v5, v6, v5
	v_mul_f32_e64 v6, v7, -v6
	s_waitcnt vmcnt(0)
	v_mul_f32_e32 v8, v4, v6
	v_mul_f32_e32 v7, v3, v6
	v_fma_f32 v6, v5, v3, -v8
	v_fmac_f32_e32 v7, v5, v4
.LBB36_19:
	s_or_b64 exec, exec, s[6:7]
	v_mul_lo_u32 v0, v0, s14
	s_waitcnt vmcnt(0)
	v_cvt_f16_f32_e32 v3, v6
	v_cvt_f16_f32_sdwa v4, v7 dst_sel:WORD_1 dst_unused:UNUSED_PAD src0_sel:DWORD
	v_add3_u32 v0, v0, v1, v2
	v_ashrrev_i32_e32 v1, 31, v0
	v_lshlrev_b64 v[0:1], 1, v[0:1]
	v_or_b32_e32 v2, v4, v3
	s_waitcnt lgkmcnt(0)
	v_mov_b32_e32 v3, s11
	v_add_co_u32_e32 v0, vcc, s10, v0
	v_addc_co_u32_e32 v1, vcc, v3, v1, vcc
	global_store_dword v[0:1], v2, off
.LBB36_20:
	s_endpgm
	.section	.rodata,"a",@progbits
	.p2align	6, 0x0
	.amdhsa_kernel _ZL9rope_normILb0ELb0Ef6__halfEvPKT1_PT2_iiiiiiiiiiPKifff14rope_corr_dimsfPKfPKli
		.amdhsa_group_segment_fixed_size 0
		.amdhsa_private_segment_fixed_size 0
		.amdhsa_kernarg_size 368
		.amdhsa_user_sgpr_count 6
		.amdhsa_user_sgpr_private_segment_buffer 1
		.amdhsa_user_sgpr_dispatch_ptr 0
		.amdhsa_user_sgpr_queue_ptr 0
		.amdhsa_user_sgpr_kernarg_segment_ptr 1
		.amdhsa_user_sgpr_dispatch_id 0
		.amdhsa_user_sgpr_flat_scratch_init 0
		.amdhsa_user_sgpr_private_segment_size 0
		.amdhsa_uses_dynamic_stack 0
		.amdhsa_system_sgpr_private_segment_wavefront_offset 0
		.amdhsa_system_sgpr_workgroup_id_x 1
		.amdhsa_system_sgpr_workgroup_id_y 1
		.amdhsa_system_sgpr_workgroup_id_z 0
		.amdhsa_system_sgpr_workgroup_info 0
		.amdhsa_system_vgpr_workitem_id 1
		.amdhsa_next_free_vgpr 23
		.amdhsa_next_free_sgpr 22
		.amdhsa_reserve_vcc 1
		.amdhsa_reserve_flat_scratch 0
		.amdhsa_float_round_mode_32 0
		.amdhsa_float_round_mode_16_64 0
		.amdhsa_float_denorm_mode_32 3
		.amdhsa_float_denorm_mode_16_64 3
		.amdhsa_dx10_clamp 1
		.amdhsa_ieee_mode 1
		.amdhsa_fp16_overflow 0
		.amdhsa_exception_fp_ieee_invalid_op 0
		.amdhsa_exception_fp_denorm_src 0
		.amdhsa_exception_fp_ieee_div_zero 0
		.amdhsa_exception_fp_ieee_overflow 0
		.amdhsa_exception_fp_ieee_underflow 0
		.amdhsa_exception_fp_ieee_inexact 0
		.amdhsa_exception_int_div_zero 0
	.end_amdhsa_kernel
	.section	.text._ZL9rope_normILb0ELb0Ef6__halfEvPKT1_PT2_iiiiiiiiiiPKifff14rope_corr_dimsfPKfPKli,"axG",@progbits,_ZL9rope_normILb0ELb0Ef6__halfEvPKT1_PT2_iiiiiiiiiiPKifff14rope_corr_dimsfPKfPKli,comdat
.Lfunc_end36:
	.size	_ZL9rope_normILb0ELb0Ef6__halfEvPKT1_PT2_iiiiiiiiiiPKifff14rope_corr_dimsfPKfPKli, .Lfunc_end36-_ZL9rope_normILb0ELb0Ef6__halfEvPKT1_PT2_iiiiiiiiiiPKifff14rope_corr_dimsfPKfPKli
                                        ; -- End function
	.set _ZL9rope_normILb0ELb0Ef6__halfEvPKT1_PT2_iiiiiiiiiiPKifff14rope_corr_dimsfPKfPKli.num_vgpr, 23
	.set _ZL9rope_normILb0ELb0Ef6__halfEvPKT1_PT2_iiiiiiiiiiPKifff14rope_corr_dimsfPKfPKli.num_agpr, 0
	.set _ZL9rope_normILb0ELb0Ef6__halfEvPKT1_PT2_iiiiiiiiiiPKifff14rope_corr_dimsfPKfPKli.numbered_sgpr, 22
	.set _ZL9rope_normILb0ELb0Ef6__halfEvPKT1_PT2_iiiiiiiiiiPKifff14rope_corr_dimsfPKfPKli.num_named_barrier, 0
	.set _ZL9rope_normILb0ELb0Ef6__halfEvPKT1_PT2_iiiiiiiiiiPKifff14rope_corr_dimsfPKfPKli.private_seg_size, 0
	.set _ZL9rope_normILb0ELb0Ef6__halfEvPKT1_PT2_iiiiiiiiiiPKifff14rope_corr_dimsfPKfPKli.uses_vcc, 1
	.set _ZL9rope_normILb0ELb0Ef6__halfEvPKT1_PT2_iiiiiiiiiiPKifff14rope_corr_dimsfPKfPKli.uses_flat_scratch, 0
	.set _ZL9rope_normILb0ELb0Ef6__halfEvPKT1_PT2_iiiiiiiiiiPKifff14rope_corr_dimsfPKfPKli.has_dyn_sized_stack, 0
	.set _ZL9rope_normILb0ELb0Ef6__halfEvPKT1_PT2_iiiiiiiiiiPKifff14rope_corr_dimsfPKfPKli.has_recursion, 0
	.set _ZL9rope_normILb0ELb0Ef6__halfEvPKT1_PT2_iiiiiiiiiiPKifff14rope_corr_dimsfPKfPKli.has_indirect_call, 0
	.section	.AMDGPU.csdata,"",@progbits
; Kernel info:
; codeLenInByte = 3692
; TotalNumSgprs: 26
; NumVgprs: 23
; ScratchSize: 0
; MemoryBound: 0
; FloatMode: 240
; IeeeMode: 1
; LDSByteSize: 0 bytes/workgroup (compile time only)
; SGPRBlocks: 3
; VGPRBlocks: 5
; NumSGPRsForWavesPerEU: 26
; NumVGPRsForWavesPerEU: 23
; Occupancy: 10
; WaveLimiterHint : 0
; COMPUTE_PGM_RSRC2:SCRATCH_EN: 0
; COMPUTE_PGM_RSRC2:USER_SGPR: 6
; COMPUTE_PGM_RSRC2:TRAP_HANDLER: 0
; COMPUTE_PGM_RSRC2:TGID_X_EN: 1
; COMPUTE_PGM_RSRC2:TGID_Y_EN: 1
; COMPUTE_PGM_RSRC2:TGID_Z_EN: 0
; COMPUTE_PGM_RSRC2:TIDIG_COMP_CNT: 1
	.section	.text._ZL9rope_normILb0ELb1Ef6__halfEvPKT1_PT2_iiiiiiiiiiPKifff14rope_corr_dimsfPKfPKli,"axG",@progbits,_ZL9rope_normILb0ELb1Ef6__halfEvPKT1_PT2_iiiiiiiiiiPKifff14rope_corr_dimsfPKfPKli,comdat
	.globl	_ZL9rope_normILb0ELb1Ef6__halfEvPKT1_PT2_iiiiiiiiiiPKifff14rope_corr_dimsfPKfPKli ; -- Begin function _ZL9rope_normILb0ELb1Ef6__halfEvPKT1_PT2_iiiiiiiiiiPKifff14rope_corr_dimsfPKfPKli
	.p2align	8
	.type	_ZL9rope_normILb0ELb1Ef6__halfEvPKT1_PT2_iiiiiiiiiiPKifff14rope_corr_dimsfPKfPKli,@function
_ZL9rope_normILb0ELb1Ef6__halfEvPKT1_PT2_iiiiiiiiiiPKifff14rope_corr_dimsfPKfPKli: ; @_ZL9rope_normILb0ELb1Ef6__halfEvPKT1_PT2_iiiiiiiiiiPKifff14rope_corr_dimsfPKfPKli
; %bb.0:
	s_load_dword s2, s[4:5], 0x7c
	s_load_dwordx8 s[8:15], s[4:5], 0x10
	s_add_u32 s0, s4, 0x70
	s_addc_u32 s1, s5, 0
	s_waitcnt lgkmcnt(0)
	s_lshr_b32 s2, s2, 16
	s_mul_i32 s7, s7, s2
	v_add_lshl_u32 v1, s7, v1, 1
	v_cmp_gt_i32_e32 vcc, s8, v1
	s_and_saveexec_b64 s[2:3], vcc
	s_cbranch_execz .LBB37_20
; %bb.1:
	s_mul_i32 s2, s10, s9
	s_abs_i32 s3, s2
	v_cvt_f32_u32_e32 v2, s3
	s_load_dword s0, s[0:1], 0xc
	s_sub_i32 s1, 0, s3
	v_cvt_f32_u32_e32 v3, s9
	v_rcp_iflag_f32_e32 v2, v2
	s_load_dword s8, s[4:5], 0x68
	s_waitcnt lgkmcnt(0)
	s_and_b32 s0, s0, 0xffff
	s_mul_i32 s6, s6, s0
	v_mul_f32_e32 v2, 0x4f7ffffe, v2
	v_cvt_u32_f32_e32 v2, v2
	v_add_u32_e32 v5, s6, v0
	v_sub_u32_e32 v0, 0, v5
	v_max_i32_e32 v0, v5, v0
	v_mul_lo_u32 v4, s1, v2
	v_rcp_iflag_f32_e32 v3, v3
	s_sub_i32 s0, 0, s9
	v_xor_b32_e32 v6, s2, v5
	v_mul_hi_u32 v4, v2, v4
	v_mul_f32_e32 v3, 0x4f7ffffe, v3
	v_cvt_u32_f32_e32 v3, v3
	v_ashrrev_i32_e32 v6, 31, v6
	v_add_u32_e32 v2, v2, v4
	v_mul_hi_u32 v2, v0, v2
	v_mul_lo_u32 v4, s0, v3
	s_cmp_eq_u32 s8, 0
	v_mul_lo_u32 v7, v2, s3
	v_add_u32_e32 v8, 1, v2
	v_mul_hi_u32 v4, v3, v4
	v_sub_u32_e32 v0, v0, v7
	v_cmp_le_u32_e32 vcc, s3, v0
	v_subrev_u32_e32 v7, s3, v0
	v_cndmask_b32_e32 v2, v2, v8, vcc
	v_cndmask_b32_e32 v0, v0, v7, vcc
	v_add_u32_e32 v7, 1, v2
	v_cmp_le_u32_e32 vcc, s3, v0
	v_cndmask_b32_e32 v0, v2, v7, vcc
	v_xor_b32_e32 v0, v0, v6
	v_sub_u32_e32 v0, v0, v6
	v_mul_lo_u32 v2, s2, v0
	v_add_u32_e32 v3, v3, v4
	s_load_dwordx2 s[6:7], s[4:5], 0x30
	s_load_dwordx4 s[0:3], s[4:5], 0x58
	v_sub_u32_e32 v4, v5, v2
	v_mul_hi_u32 v2, v4, v3
	v_mul_lo_u32 v3, v2, s9
	v_add_u32_e32 v5, 1, v2
	v_sub_u32_e32 v3, v4, v3
	v_cmp_le_u32_e32 vcc, s9, v3
	v_cndmask_b32_e32 v2, v2, v5, vcc
	v_subrev_u32_e32 v5, s9, v3
	v_cndmask_b32_e32 v3, v3, v5, vcc
	v_add_u32_e32 v5, 1, v2
	v_cmp_le_u32_e32 vcc, s9, v3
	v_cndmask_b32_e32 v5, v2, v5, vcc
	s_cbranch_scc1 .LBB37_3
; %bb.2:
	v_mov_b32_e32 v6, 0
	v_lshlrev_b64 v[2:3], 3, v[5:6]
	s_waitcnt lgkmcnt(0)
	v_mov_b32_e32 v6, s3
	v_add_co_u32_e32 v2, vcc, s2, v2
	v_addc_co_u32_e32 v3, vcc, v6, v3, vcc
	global_load_dword v2, v[2:3], off
	s_waitcnt vmcnt(0)
	v_mul_lo_u32 v2, s8, v2
	s_branch .LBB37_4
.LBB37_3:
	s_waitcnt lgkmcnt(0)
	v_mul_lo_u32 v2, v0, s6
	v_mad_u64_u32 v[2:3], s[2:3], v5, s15, v[2:3]
.LBB37_4:
	v_mul_lo_u32 v3, v5, s9
	v_mad_u64_u32 v[6:7], s[2:3], v0, s13, v[1:2]
	v_mul_lo_u32 v8, v5, s12
	v_sub_u32_e32 v0, v4, v3
	v_mul_lo_u32 v3, v0, s11
	s_load_dwordx4 s[8:11], s[4:5], 0x0
	v_cmp_le_i32_e32 vcc, s7, v1
	v_add3_u32 v3, v6, v8, v3
	v_ashrrev_i32_e32 v4, 31, v3
                                        ; implicit-def: $vgpr7
	s_and_saveexec_b64 s[2:3], vcc
	s_xor_b64 s[2:3], exec, s[2:3]
	s_cbranch_execz .LBB37_6
; %bb.5:
	v_lshlrev_b64 v[3:4], 2, v[3:4]
	s_waitcnt lgkmcnt(0)
	v_mov_b32_e32 v5, s9
	v_add_co_u32_e32 v3, vcc, s8, v3
	v_addc_co_u32_e32 v4, vcc, v5, v4, vcc
	global_load_dwordx2 v[6:7], v[3:4], off
                                        ; implicit-def: $vgpr3
                                        ; implicit-def: $vgpr5
.LBB37_6:
	s_andn2_saveexec_b64 s[12:13], s[2:3]
	s_cbranch_execz .LBB37_19
; %bb.7:
	s_load_dwordx2 s[2:3], s[4:5], 0x38
	s_load_dwordx2 s[16:17], s[4:5], 0x50
	s_waitcnt vmcnt(0)
	v_mov_b32_e32 v6, 0
	v_lshlrev_b64 v[5:6], 2, v[5:6]
	v_mov_b32_e32 v11, 0x3e91f4c4
	s_waitcnt lgkmcnt(0)
	v_mov_b32_e32 v7, s3
	v_add_co_u32_e32 v5, vcc, s2, v5
	v_addc_co_u32_e32 v6, vcc, v7, v6, vcc
	global_load_dword v5, v[5:6], off
	v_cvt_f32_i32_e32 v6, v1
	v_cmp_neq_f32_e64 vcc, s17, 1.0
	s_mov_b32 s2, 0x3f2aaaab
	v_mov_b32_e32 v12, 0x3ecccdef
	v_mul_f32_e32 v6, 0.5, v6
	v_cndmask_b32_e32 v8, 1.0, v6, vcc
	v_mov_b32_e32 v6, s17
	v_cmp_neq_f32_e32 vcc, 0, v8
	v_cndmask_b32_e32 v7, 1.0, v6, vcc
	v_frexp_mant_f32_e64 v6, |v7|
	v_cmp_gt_f32_e32 vcc, s2, v6
	v_cvt_f64_f32_e64 v[9:10], |v7|
	v_cndmask_b32_e64 v13, 1.0, 2.0, vcc
	v_mul_f32_e32 v6, v6, v13
	v_add_f32_e32 v14, 1.0, v6
	v_rcp_f32_e32 v15, v14
	v_frexp_exp_i32_f64_e32 v9, v[9:10]
	v_add_f32_e32 v13, -1.0, v6
	v_add_f32_e32 v16, -1.0, v14
	v_mul_f32_e32 v10, v13, v15
	v_sub_f32_e32 v6, v6, v16
	v_mul_f32_e32 v16, v14, v10
	v_fma_f32 v14, v10, v14, -v16
	v_fmac_f32_e32 v14, v10, v6
	v_add_f32_e32 v6, v16, v14
	v_subbrev_co_u32_e32 v9, vcc, 0, v9, vcc
	v_sub_f32_e32 v17, v13, v6
	v_sub_f32_e32 v16, v6, v16
	v_cvt_f32_i32_e32 v18, v9
	v_sub_f32_e32 v9, v13, v17
	v_sub_f32_e32 v13, v16, v14
	v_sub_f32_e32 v6, v9, v6
	v_add_f32_e32 v6, v13, v6
	v_add_f32_e32 v6, v17, v6
	v_mul_f32_e32 v6, v15, v6
	v_add_f32_e32 v15, v10, v6
	v_sub_f32_e32 v9, v15, v10
	v_mul_f32_e32 v10, v15, v15
	v_sub_f32_e32 v6, v6, v9
	v_fma_f32 v9, v15, v15, -v10
	v_add_f32_e32 v16, v6, v6
	v_fmac_f32_e32 v9, v15, v16
	v_add_f32_e32 v16, v10, v9
	v_fmac_f32_e32 v11, 0x3e76c4e1, v16
	v_sub_f32_e32 v10, v16, v10
	v_mul_f32_e32 v17, v15, v16
	v_fmac_f32_e32 v12, v16, v11
	v_sub_f32_e32 v9, v9, v10
	v_fma_f32 v10, v16, v15, -v17
	v_fmac_f32_e32 v10, v16, v6
	v_mul_f32_e32 v11, v16, v12
	v_fmac_f32_e32 v10, v9, v15
	v_fma_f32 v16, v16, v12, -v11
	v_add_f32_e32 v19, v17, v10
	v_fmac_f32_e32 v16, v9, v12
	v_sub_f32_e32 v9, v19, v17
	v_add_f32_e32 v12, v11, v16
	v_sub_f32_e32 v9, v10, v9
	v_add_f32_e32 v10, 0x3f2aaaaa, v12
	v_sub_f32_e32 v11, v12, v11
	v_sub_f32_e32 v11, v16, v11
	v_add_f32_e32 v16, 0xbf2aaaaa, v10
	v_add_f32_e32 v11, 0x31739010, v11
	v_sub_f32_e32 v12, v12, v16
	v_add_f32_e32 v11, v11, v12
	v_add_f32_e32 v12, v10, v11
	s_mov_b32 s3, 0x3f317218
	v_mul_f32_e32 v13, 0x3f317218, v18
	v_sub_f32_e32 v10, v10, v12
	v_mul_f32_e32 v16, v19, v12
	v_fma_f32 v14, v18, s3, -v13
	v_add_f32_e32 v10, v11, v10
	v_fma_f32 v11, v19, v12, -v16
	v_fmac_f32_e32 v11, v19, v10
	v_fmac_f32_e32 v14, 0xb102e308, v18
	;; [unrolled: 1-line block ×3, first 2 shown]
	v_add_f32_e32 v10, v13, v14
	v_sub_f32_e32 v12, v10, v13
	v_add_f32_e32 v13, v16, v11
	s_waitcnt vmcnt(0)
	v_cvt_f32_i32_e32 v9, v5
	v_ldexp_f32 v5, v6, 1
	v_ldexp_f32 v6, v15, 1
	v_sub_f32_e32 v12, v14, v12
	v_sub_f32_e32 v14, v13, v16
	;; [unrolled: 1-line block ×3, first 2 shown]
	v_add_f32_e32 v14, v6, v13
	v_sub_f32_e32 v6, v14, v6
	v_sub_f32_e32 v6, v13, v6
	v_add_f32_e32 v5, v5, v11
	v_add_f32_e32 v5, v5, v6
	;; [unrolled: 1-line block ×3, first 2 shown]
	v_sub_f32_e32 v11, v6, v14
	v_add_f32_e32 v13, v10, v6
	v_sub_f32_e32 v5, v5, v11
	v_sub_f32_e32 v11, v13, v10
	v_sub_f32_e32 v14, v13, v11
	v_sub_f32_e32 v10, v10, v14
	v_sub_f32_e32 v6, v6, v11
	v_add_f32_e32 v15, v12, v5
	v_add_f32_e32 v14, v6, v10
	v_sub_f32_e32 v6, v15, v12
	v_sub_f32_e32 v10, v15, v6
	;; [unrolled: 1-line block ×4, first 2 shown]
	v_add_f32_e32 v12, v5, v10
	v_ashrrev_i32_e32 v5, 1, v1
	v_ashrrev_i32_e32 v6, 31, v5
	v_lshlrev_b64 v[10:11], 2, v[5:6]
	v_mov_b32_e32 v6, s1
	v_add_co_u32_e32 v10, vcc, s0, v10
	v_addc_co_u32_e32 v11, vcc, v6, v11, vcc
	global_load_dword v6, v[10:11], off
	v_add_f32_e32 v10, v15, v14
	v_add_f32_e32 v11, v13, v10
	v_sub_f32_e32 v13, v11, v13
	v_sub_f32_e32 v10, v10, v13
	v_add_f32_e32 v10, v12, v10
	v_add_f32_e32 v12, v11, v10
	v_sub_f32_e32 v11, v12, v11
	v_sub_f32_e32 v10, v10, v11
	v_mul_f32_e32 v11, v8, v12
	v_fma_f32 v12, v8, v12, -v11
	v_fmac_f32_e32 v12, v8, v10
	s_movk_i32 s17, 0x204
	v_add_f32_e32 v10, v11, v12
	v_cmp_class_f32_e64 vcc, v11, s17
	v_sub_f32_e32 v13, v10, v11
	v_cndmask_b32_e32 v10, v10, v11, vcc
	s_mov_b32 s0, 0x42b17218
	v_mov_b32_e32 v11, 0x37000000
	v_cmp_eq_f32_e32 vcc, s0, v10
	v_cndmask_b32_e32 v11, 0, v11, vcc
	v_sub_f32_e32 v12, v12, v13
	v_sub_f32_e32 v13, v10, v11
	s_mov_b32 s1, 0x3fb8aa3b
	v_mul_f32_e32 v14, 0x3fb8aa3b, v13
	v_fma_f32 v15, v13, s1, -v14
	v_rndne_f32_e32 v16, v14
	v_fmac_f32_e32 v15, 0x32a5705f, v13
	v_sub_f32_e32 v14, v14, v16
	v_add_f32_e32 v14, v14, v15
	v_exp_f32_e32 v14, v14
	v_cvt_i32_f32_e32 v15, v16
	s_mov_b32 s15, 0x7f800000
	v_cmp_neq_f32_e64 vcc, |v10|, s15
	v_cndmask_b32_e32 v10, 0, v12, vcc
	s_mov_b32 s1, 0xc2ce8ed0
	v_add_f32_e32 v10, v11, v10
	v_ldexp_f32 v11, v14, v15
	v_cmp_ngt_f32_e32 vcc, s1, v13
	v_cndmask_b32_e32 v11, 0, v11, vcc
	v_mov_b32_e32 v12, 0x7f800000
	v_cmp_nlt_f32_e32 vcc, s0, v13
	v_cndmask_b32_e32 v11, v12, v11, vcc
	v_fma_f32 v10, v11, v10, v11
	v_cmp_class_f32_e64 vcc, v11, s17
	v_cndmask_b32_e32 v10, v10, v11, vcc
	v_trunc_f32_e32 v11, v8
	v_cmp_eq_f32_e32 vcc, v11, v8
	v_mul_f32_e32 v11, 0.5, v8
	v_trunc_f32_e32 v14, v11
	v_cmp_neq_f32_e64 s[0:1], v14, v11
	s_and_b64 s[0:1], vcc, s[0:1]
	v_cndmask_b32_e64 v11, 1.0, v7, s[0:1]
	s_brev_b32 s18, -2
	v_mov_b32_e32 v13, 0x7fc00000
	v_bfi_b32 v10, s18, v10, v11
	v_cmp_neq_f32_e64 s[2:3], v8, |v8|
	v_cmp_lt_f32_e64 s[6:7], |v7|, 1.0
	v_cndmask_b32_e32 v11, v13, v10, vcc
	v_cmp_gt_f32_e32 vcc, 0, v7
	s_xor_b64 s[2:3], s[2:3], s[6:7]
	v_cndmask_b32_e32 v10, v10, v11, vcc
	v_cndmask_b32_e64 v11, v12, 0, s[2:3]
	v_cmp_neq_f32_e64 vcc, |v7|, 1.0
	v_cndmask_b32_e32 v11, 1.0, v11, vcc
	v_cmp_class_f32_e64 vcc, v8, s17
	v_cndmask_b32_e32 v10, v10, v11, vcc
	v_cmp_eq_f32_e32 vcc, 0, v7
	v_cmp_gt_f32_e64 s[2:3], 0, v8
	s_xor_b64 s[2:3], s[2:3], vcc
	v_cmp_class_f32_e64 s[6:7], v7, s17
	v_cndmask_b32_e64 v8, v12, 0, s[2:3]
	v_cndmask_b32_e64 v11, 0, v7, s[0:1]
	v_bfi_b32 v8, s18, v8, v11
	s_or_b64 vcc, vcc, s[6:7]
	v_cndmask_b32_e32 v8, v10, v8, vcc
	v_cmp_o_f32_e32 vcc, v7, v7
	v_cndmask_b32_e32 v7, v13, v8, vcc
	v_mul_f32_e32 v7, v7, v9
	s_load_dwordx4 s[4:7], s[4:5], 0x40
	s_waitcnt vmcnt(0)
	v_div_scale_f32 v8, s[0:1], v6, v6, v7
	v_div_scale_f32 v9, vcc, v7, v6, v7
	s_waitcnt lgkmcnt(0)
	v_cmp_eq_f32_e64 s[0:1], s5, 0
	v_rcp_f32_e32 v10, v8
	v_fma_f32 v11, -v8, v10, 1.0
	v_fmac_f32_e32 v10, v11, v10
	v_mul_f32_e32 v11, v9, v10
	v_fma_f32 v12, -v8, v11, v9
	v_fmac_f32_e32 v11, v12, v10
	v_fma_f32 v8, -v8, v11, v9
	v_div_fmas_f32 v8, v8, v10, v11
	s_and_b64 vcc, exec, s[0:1]
	v_div_fixup_f32 v8, v8, v6, v7
	v_mul_f32_e32 v6, s4, v8
	s_cbranch_vccnz .LBB37_9
; %bb.8:
	v_cvt_f32_i32_e32 v5, v5
	v_div_scale_f32 v9, s[0:1], s4, s4, 1.0
	v_mov_b32_e32 v7, s7
	v_sub_f32_e32 v7, s16, v7
	v_subrev_f32_e32 v5, s7, v5
	v_max_f32_e32 v7, 0x3a83126f, v7
	v_div_scale_f32 v10, s[0:1], v7, v7, v5
	v_div_scale_f32 v11, s[0:1], 1.0, s4, 1.0
	v_div_scale_f32 v12, vcc, v5, v7, v5
	s_mov_b32 s2, 0x3f317217
	v_rcp_f32_e32 v13, v9
	v_fma_f32 v14, -v9, v13, 1.0
	v_fmac_f32_e32 v13, v14, v13
	v_rcp_f32_e32 v15, v10
	v_mul_f32_e32 v14, v11, v13
	v_fma_f32 v16, -v9, v14, v11
	v_fmac_f32_e32 v14, v16, v13
	v_fma_f32 v16, -v10, v15, 1.0
	v_fmac_f32_e32 v15, v16, v15
	v_fma_f32 v9, -v9, v14, v11
	v_mul_f32_e32 v11, v12, v15
	v_fma_f32 v16, -v10, v11, v12
	v_fmac_f32_e32 v11, v16, v15
	v_fma_f32 v10, -v10, v11, v12
	v_div_fmas_f32 v10, v10, v15, v11
	s_mov_b64 vcc, s[0:1]
	v_div_fmas_f32 v9, v9, v13, v14
	s_mov_b32 s0, 0x800000
	v_mov_b32_e32 v11, 0x41b17218
	v_div_fixup_f32 v5, v10, v7, v5 clamp
	v_sub_f32_e32 v5, 1.0, v5
	v_div_fixup_f32 v7, v9, s4, 1.0
	v_cmp_gt_f32_e32 vcc, s0, v7
	s_and_b64 s[0:1], vcc, exec
	s_cselect_b32 s0, 32, 0
	v_ldexp_f32 v7, v7, s0
	v_log_f32_e32 v7, v7
	v_mul_f32_e32 v9, s5, v5
	v_fma_f32 v5, -s5, v5, 1.0
	v_mul_f32_e32 v6, v5, v6
	v_mul_f32_e32 v5, 0x3f317217, v7
	v_fma_f32 v5, v7, s2, -v5
	v_fmac_f32_e32 v5, 0x3377d1cf, v7
	v_cndmask_b32_e32 v10, 0, v11, vcc
	v_fmac_f32_e32 v5, 0x3f317217, v7
	v_cmp_lt_f32_e64 vcc, |v7|, s15
	v_cndmask_b32_e32 v5, v7, v5, vcc
	v_sub_f32_e32 v5, v5, v10
	s_mov_b32 s0, 0x3dcccccd
	v_fma_f32 v5, v5, s0, 1.0
	v_fmac_f32_e32 v6, v9, v8
	v_mul_f32_e32 v7, s6, v5
	s_branch .LBB37_10
.LBB37_9:
	v_mov_b32_e32 v7, s6
.LBB37_10:
	v_and_b32_e32 v5, 0x7fffffff, v6
	s_brev_b32 s0, 18
	v_cmp_nlt_f32_e64 s[6:7], |v6|, s0
	v_lshrrev_b32_e32 v10, 23, v5
                                        ; implicit-def: $vgpr9
                                        ; implicit-def: $vgpr8
	s_and_saveexec_b64 s[0:1], s[6:7]
	s_xor_b64 s[16:17], exec, s[0:1]
	s_cbranch_execz .LBB37_12
; %bb.11:
	v_and_b32_e32 v8, 0x7fffff, v5
	v_or_b32_e32 v19, 0x800000, v8
	s_mov_b32 s0, 0xfe5163ab
	v_mad_u64_u32 v[8:9], s[0:1], v19, s0, 0
	v_mov_b32_e32 v12, 0
	s_mov_b32 s0, 0x3c439041
	v_mov_b32_e32 v11, v9
	v_mad_u64_u32 v[13:14], s[0:1], v19, s0, v[11:12]
	s_mov_b32 s0, 0xdb629599
	v_add_u32_e32 v9, 0xffffff88, v10
	v_mov_b32_e32 v11, v14
	v_mad_u64_u32 v[14:15], s[0:1], v19, s0, v[11:12]
	s_mov_b32 s0, 0xf534ddc0
	v_not_b32_e32 v18, 63
	v_mov_b32_e32 v11, v15
	v_mad_u64_u32 v[15:16], s[0:1], v19, s0, v[11:12]
	s_mov_b32 s0, 0xfc2757d1
	v_cmp_lt_u32_e32 vcc, 63, v9
	v_mov_b32_e32 v11, v16
	v_mad_u64_u32 v[16:17], s[0:1], v19, s0, v[11:12]
	v_cndmask_b32_e32 v11, 0, v18, vcc
	v_add_u32_e32 v9, v11, v9
	v_mov_b32_e32 v11, v17
	s_mov_b32 s0, 0x4e441529
	v_mad_u64_u32 v[17:18], s[0:1], v19, s0, v[11:12]
	v_not_b32_e32 v20, 31
	v_cmp_lt_u32_e64 s[0:1], 31, v9
	v_cndmask_b32_e64 v11, 0, v20, s[0:1]
	v_add_u32_e32 v9, v11, v9
	v_mov_b32_e32 v11, v18
	s_mov_b32 s2, 0xa2f9836e
	v_mad_u64_u32 v[11:12], s[2:3], v19, s2, v[11:12]
	v_cmp_lt_u32_e64 s[2:3], 31, v9
	v_cndmask_b32_e64 v18, 0, v20, s[2:3]
	v_add_u32_e32 v9, v18, v9
	v_cndmask_b32_e32 v18, v17, v15, vcc
	v_cndmask_b32_e32 v11, v11, v16, vcc
	;; [unrolled: 1-line block ×3, first 2 shown]
	v_cndmask_b32_e64 v19, v11, v18, s[0:1]
	v_cndmask_b32_e64 v11, v12, v11, s[0:1]
	v_cndmask_b32_e32 v12, v16, v14, vcc
	v_cndmask_b32_e64 v16, v18, v12, s[0:1]
	v_cndmask_b32_e64 v11, v11, v19, s[2:3]
	;; [unrolled: 1-line block ×3, first 2 shown]
	v_sub_u32_e32 v18, 32, v9
	v_alignbit_b32 v19, v11, v17, v18
	v_cmp_eq_u32_e64 s[4:5], 0, v9
	v_cndmask_b32_e64 v9, v19, v11, s[4:5]
	v_cndmask_b32_e32 v11, v15, v13, vcc
	v_cndmask_b32_e64 v12, v12, v11, s[0:1]
	v_cndmask_b32_e64 v13, v16, v12, s[2:3]
	v_alignbit_b32 v15, v17, v13, v18
	v_cndmask_b32_e32 v8, v14, v8, vcc
	v_cndmask_b32_e64 v15, v15, v17, s[4:5]
	v_bfe_u32 v19, v9, 29, 1
	v_cndmask_b32_e64 v8, v11, v8, s[0:1]
	v_alignbit_b32 v16, v9, v15, 30
	v_sub_u32_e32 v20, 0, v19
	v_cndmask_b32_e64 v8, v12, v8, s[2:3]
	v_xor_b32_e32 v16, v16, v20
	v_alignbit_b32 v11, v13, v8, v18
	v_cndmask_b32_e64 v11, v11, v13, s[4:5]
	v_ffbh_u32_e32 v13, v16
	v_alignbit_b32 v12, v15, v11, 30
	v_min_u32_e32 v13, 32, v13
	v_alignbit_b32 v8, v11, v8, 30
	v_xor_b32_e32 v12, v12, v20
	v_sub_u32_e32 v14, 31, v13
	v_xor_b32_e32 v8, v8, v20
	v_alignbit_b32 v15, v16, v12, v14
	v_alignbit_b32 v8, v12, v8, v14
	;; [unrolled: 1-line block ×3, first 2 shown]
	v_ffbh_u32_e32 v12, v11
	v_min_u32_e32 v12, 32, v12
	v_lshrrev_b32_e32 v17, 29, v9
	v_not_b32_e32 v14, v12
	v_alignbit_b32 v8, v11, v8, v14
	v_lshlrev_b32_e32 v11, 31, v17
	v_or_b32_e32 v14, 0x33000000, v11
	v_add_lshl_u32 v12, v12, v13, 23
	v_lshrrev_b32_e32 v8, 9, v8
	v_sub_u32_e32 v12, v14, v12
	v_or_b32_e32 v11, 0.5, v11
	v_lshlrev_b32_e32 v13, 23, v13
	v_or_b32_e32 v8, v12, v8
	v_lshrrev_b32_e32 v12, 9, v15
	v_sub_u32_e32 v11, v11, v13
	v_or_b32_e32 v11, v12, v11
	s_mov_b32 s0, 0x3fc90fda
	v_mul_f32_e32 v12, 0x3fc90fda, v11
	v_fma_f32 v13, v11, s0, -v12
	v_fmac_f32_e32 v13, 0x33a22168, v11
	v_fmac_f32_e32 v13, 0x3fc90fda, v8
	v_lshrrev_b32_e32 v9, 30, v9
	v_add_f32_e32 v8, v12, v13
	v_add_u32_e32 v9, v19, v9
	s_andn2_saveexec_b64 s[0:1], s[16:17]
	s_cbranch_execz .LBB37_14
	s_branch .LBB37_13
.LBB37_12:
	s_andn2_saveexec_b64 s[0:1], s[16:17]
	s_cbranch_execz .LBB37_14
.LBB37_13:
	s_mov_b32 s2, 0x3f22f983
	v_mul_f32_e64 v8, |v6|, s2
	v_rndne_f32_e32 v11, v8
	s_mov_b32 s2, 0xbfc90fda
	v_cvt_i32_f32_e32 v9, v11
	v_fma_f32 v8, v11, s2, |v6|
	v_fmac_f32_e32 v8, 0xb3a22168, v11
	v_fmac_f32_e32 v8, 0xa7c234c4, v11
.LBB37_14:
	s_or_b64 exec, exec, s[0:1]
                                        ; implicit-def: $vgpr12
                                        ; implicit-def: $vgpr11
	s_and_saveexec_b64 s[0:1], s[6:7]
	s_xor_b64 s[6:7], exec, s[0:1]
	s_cbranch_execz .LBB37_16
; %bb.15:
	v_and_b32_e32 v11, 0x7fffff, v5
	v_or_b32_e32 v20, 0x800000, v11
	s_mov_b32 s0, 0xfe5163ab
	v_mad_u64_u32 v[11:12], s[0:1], v20, s0, 0
	v_mov_b32_e32 v13, 0
	s_mov_b32 s0, 0x3c439041
	v_mad_u64_u32 v[14:15], s[0:1], v20, s0, v[12:13]
	s_mov_b32 s0, 0xdb629599
	v_add_u32_e32 v10, 0xffffff88, v10
	v_mov_b32_e32 v12, v15
	v_mad_u64_u32 v[15:16], s[0:1], v20, s0, v[12:13]
	s_mov_b32 s0, 0xf534ddc0
	v_not_b32_e32 v19, 63
	v_mov_b32_e32 v12, v16
	v_mad_u64_u32 v[16:17], s[0:1], v20, s0, v[12:13]
	s_mov_b32 s0, 0xfc2757d1
	v_cmp_lt_u32_e32 vcc, 63, v10
	v_mov_b32_e32 v12, v17
	v_mad_u64_u32 v[17:18], s[0:1], v20, s0, v[12:13]
	v_cndmask_b32_e32 v12, 0, v19, vcc
	v_add_u32_e32 v10, v12, v10
	v_mov_b32_e32 v12, v18
	s_mov_b32 s0, 0x4e441529
	v_mad_u64_u32 v[18:19], s[0:1], v20, s0, v[12:13]
	v_not_b32_e32 v21, 31
	v_cmp_lt_u32_e64 s[0:1], 31, v10
	v_cndmask_b32_e64 v12, 0, v21, s[0:1]
	v_add_u32_e32 v10, v12, v10
	v_mov_b32_e32 v12, v19
	s_mov_b32 s2, 0xa2f9836e
	v_mad_u64_u32 v[12:13], s[2:3], v20, s2, v[12:13]
	v_cmp_lt_u32_e64 s[2:3], 31, v10
	v_cndmask_b32_e64 v19, 0, v21, s[2:3]
	v_add_u32_e32 v10, v19, v10
	v_cndmask_b32_e32 v19, v18, v16, vcc
	v_cndmask_b32_e32 v12, v12, v17, vcc
	;; [unrolled: 1-line block ×3, first 2 shown]
	v_cndmask_b32_e64 v20, v12, v19, s[0:1]
	v_cndmask_b32_e64 v12, v13, v12, s[0:1]
	v_cndmask_b32_e32 v13, v17, v15, vcc
	v_cndmask_b32_e64 v17, v19, v13, s[0:1]
	v_cndmask_b32_e64 v12, v12, v20, s[2:3]
	;; [unrolled: 1-line block ×3, first 2 shown]
	v_sub_u32_e32 v19, 32, v10
	v_alignbit_b32 v20, v12, v18, v19
	v_cmp_eq_u32_e64 s[4:5], 0, v10
	v_cndmask_b32_e64 v10, v20, v12, s[4:5]
	v_cndmask_b32_e32 v12, v16, v14, vcc
	v_cndmask_b32_e64 v13, v13, v12, s[0:1]
	v_cndmask_b32_e64 v14, v17, v13, s[2:3]
	v_alignbit_b32 v16, v18, v14, v19
	v_cndmask_b32_e32 v11, v15, v11, vcc
	v_cndmask_b32_e64 v16, v16, v18, s[4:5]
	v_bfe_u32 v20, v10, 29, 1
	v_cndmask_b32_e64 v11, v12, v11, s[0:1]
	v_alignbit_b32 v17, v10, v16, 30
	v_sub_u32_e32 v21, 0, v20
	v_cndmask_b32_e64 v11, v13, v11, s[2:3]
	v_xor_b32_e32 v17, v17, v21
	v_alignbit_b32 v12, v14, v11, v19
	v_cndmask_b32_e64 v12, v12, v14, s[4:5]
	v_ffbh_u32_e32 v14, v17
	v_alignbit_b32 v13, v16, v12, 30
	v_min_u32_e32 v14, 32, v14
	v_alignbit_b32 v11, v12, v11, 30
	v_xor_b32_e32 v13, v13, v21
	v_sub_u32_e32 v15, 31, v14
	v_xor_b32_e32 v11, v11, v21
	v_alignbit_b32 v16, v17, v13, v15
	v_alignbit_b32 v11, v13, v11, v15
	;; [unrolled: 1-line block ×3, first 2 shown]
	v_ffbh_u32_e32 v13, v12
	v_min_u32_e32 v13, 32, v13
	v_lshrrev_b32_e32 v18, 29, v10
	v_not_b32_e32 v15, v13
	v_alignbit_b32 v11, v12, v11, v15
	v_lshlrev_b32_e32 v12, 31, v18
	v_or_b32_e32 v15, 0x33000000, v12
	v_add_lshl_u32 v13, v13, v14, 23
	v_lshrrev_b32_e32 v11, 9, v11
	v_sub_u32_e32 v13, v15, v13
	v_or_b32_e32 v12, 0.5, v12
	v_lshlrev_b32_e32 v14, 23, v14
	v_or_b32_e32 v11, v13, v11
	v_lshrrev_b32_e32 v13, 9, v16
	v_sub_u32_e32 v12, v12, v14
	v_or_b32_e32 v12, v13, v12
	s_mov_b32 s0, 0x3fc90fda
	v_mul_f32_e32 v13, 0x3fc90fda, v12
	v_fma_f32 v14, v12, s0, -v13
	v_fmac_f32_e32 v14, 0x33a22168, v12
	v_fmac_f32_e32 v14, 0x3fc90fda, v11
	v_lshrrev_b32_e32 v10, 30, v10
	v_add_f32_e32 v11, v13, v14
	v_add_u32_e32 v12, v20, v10
	s_andn2_saveexec_b64 s[0:1], s[6:7]
	s_cbranch_execnz .LBB37_17
	s_branch .LBB37_18
.LBB37_16:
	s_andn2_saveexec_b64 s[0:1], s[6:7]
	s_cbranch_execz .LBB37_18
.LBB37_17:
	s_mov_b32 s2, 0x3f22f983
	v_mul_f32_e64 v10, |v6|, s2
	v_rndne_f32_e32 v10, v10
	s_mov_b32 s2, 0xbfc90fda
	v_cvt_i32_f32_e32 v12, v10
	v_fma_f32 v11, v10, s2, |v6|
	v_fmac_f32_e32 v11, 0xb3a22168, v10
	v_fmac_f32_e32 v11, 0xa7c234c4, v10
.LBB37_18:
	s_or_b64 exec, exec, s[0:1]
	v_lshlrev_b64 v[3:4], 2, v[3:4]
	v_mov_b32_e32 v10, s9
	v_add_co_u32_e32 v3, vcc, s8, v3
	v_addc_co_u32_e32 v4, vcc, v10, v4, vcc
	global_load_dwordx2 v[3:4], v[3:4], off
	v_mul_f32_e32 v10, v8, v8
	v_mov_b32_e32 v13, 0x3c0881c4
	v_mov_b32_e32 v14, 0x3c0881c4
	v_mul_f32_e32 v22, v11, v11
	v_mov_b32_e32 v15, 0xbe2aaa9d
	v_mov_b32_e32 v17, 0xbab64f3b
	v_fmac_f32_e32 v14, 0xb94c1982, v10
	v_fmac_f32_e32 v13, 0xb94c1982, v22
	v_mov_b32_e32 v16, 0xbab64f3b
	v_mov_b32_e32 v18, 0x3d2aabf7
	v_fma_f32 v14, v10, v14, v15
	v_fmac_f32_e32 v15, v22, v13
	v_and_b32_e32 v13, 1, v12
	v_lshlrev_b32_e32 v12, 30, v12
	v_fmac_f32_e32 v17, 0x37d75334, v10
	v_mov_b32_e32 v19, 0xbf000004
	v_xor_b32_e32 v5, v5, v6
	v_fmac_f32_e32 v16, 0x37d75334, v22
	v_and_b32_e32 v12, 0x80000000, v12
	v_fma_f32 v17, v10, v17, v18
	v_and_b32_e32 v20, 1, v9
	v_fmac_f32_e32 v18, v22, v16
	v_xor_b32_e32 v5, v5, v12
	v_mul_f32_e32 v12, v10, v14
	v_fma_f32 v14, v10, v17, v19
	v_mul_f32_e32 v15, v22, v15
	v_fmac_f32_e32 v19, v22, v18
	v_fmac_f32_e32 v8, v8, v12
	v_fma_f32 v10, v10, v14, 1.0
	v_cmp_eq_u32_e32 vcc, 0, v20
	v_fmac_f32_e32 v11, v11, v15
	v_fma_f32 v12, v22, v19, 1.0
	v_cndmask_b32_e64 v8, -v8, v10, vcc
	v_cmp_eq_u32_e32 vcc, 0, v13
	v_lshlrev_b32_e32 v9, 30, v9
	s_movk_i32 s0, 0x1f8
	v_cndmask_b32_e32 v10, v12, v11, vcc
	v_mov_b32_e32 v21, 0x7fc00000
	v_and_b32_e32 v9, 0x80000000, v9
	v_xor_b32_e32 v5, v5, v10
	v_cmp_class_f32_e64 vcc, v6, s0
	v_xor_b32_e32 v8, v9, v8
	v_cndmask_b32_e32 v5, v21, v5, vcc
	v_cndmask_b32_e32 v6, v21, v8, vcc
	v_mul_f32_e64 v5, v5, -v7
	v_mul_f32_e32 v8, v7, v6
	s_waitcnt vmcnt(0)
	v_mul_f32_e32 v6, v4, v5
	v_mul_f32_e32 v7, v3, v5
	v_fma_f32 v6, v8, v3, -v6
	v_fmac_f32_e32 v7, v8, v4
.LBB37_19:
	s_or_b64 exec, exec, s[12:13]
	v_mul_lo_u32 v0, v0, s14
	s_waitcnt vmcnt(0)
	v_cvt_f16_f32_e32 v3, v6
	v_cvt_f16_f32_sdwa v4, v7 dst_sel:WORD_1 dst_unused:UNUSED_PAD src0_sel:DWORD
	v_add3_u32 v0, v0, v1, v2
	v_ashrrev_i32_e32 v1, 31, v0
	v_lshlrev_b64 v[0:1], 1, v[0:1]
	v_or_b32_e32 v2, v4, v3
	s_waitcnt lgkmcnt(0)
	v_mov_b32_e32 v3, s11
	v_add_co_u32_e32 v0, vcc, s10, v0
	v_addc_co_u32_e32 v1, vcc, v3, v1, vcc
	global_store_dword v[0:1], v2, off
.LBB37_20:
	s_endpgm
	.section	.rodata,"a",@progbits
	.p2align	6, 0x0
	.amdhsa_kernel _ZL9rope_normILb0ELb1Ef6__halfEvPKT1_PT2_iiiiiiiiiiPKifff14rope_corr_dimsfPKfPKli
		.amdhsa_group_segment_fixed_size 0
		.amdhsa_private_segment_fixed_size 0
		.amdhsa_kernarg_size 368
		.amdhsa_user_sgpr_count 6
		.amdhsa_user_sgpr_private_segment_buffer 1
		.amdhsa_user_sgpr_dispatch_ptr 0
		.amdhsa_user_sgpr_queue_ptr 0
		.amdhsa_user_sgpr_kernarg_segment_ptr 1
		.amdhsa_user_sgpr_dispatch_id 0
		.amdhsa_user_sgpr_flat_scratch_init 0
		.amdhsa_user_sgpr_private_segment_size 0
		.amdhsa_uses_dynamic_stack 0
		.amdhsa_system_sgpr_private_segment_wavefront_offset 0
		.amdhsa_system_sgpr_workgroup_id_x 1
		.amdhsa_system_sgpr_workgroup_id_y 1
		.amdhsa_system_sgpr_workgroup_id_z 0
		.amdhsa_system_sgpr_workgroup_info 0
		.amdhsa_system_vgpr_workitem_id 1
		.amdhsa_next_free_vgpr 23
		.amdhsa_next_free_sgpr 19
		.amdhsa_reserve_vcc 1
		.amdhsa_reserve_flat_scratch 0
		.amdhsa_float_round_mode_32 0
		.amdhsa_float_round_mode_16_64 0
		.amdhsa_float_denorm_mode_32 3
		.amdhsa_float_denorm_mode_16_64 3
		.amdhsa_dx10_clamp 1
		.amdhsa_ieee_mode 1
		.amdhsa_fp16_overflow 0
		.amdhsa_exception_fp_ieee_invalid_op 0
		.amdhsa_exception_fp_denorm_src 0
		.amdhsa_exception_fp_ieee_div_zero 0
		.amdhsa_exception_fp_ieee_overflow 0
		.amdhsa_exception_fp_ieee_underflow 0
		.amdhsa_exception_fp_ieee_inexact 0
		.amdhsa_exception_int_div_zero 0
	.end_amdhsa_kernel
	.section	.text._ZL9rope_normILb0ELb1Ef6__halfEvPKT1_PT2_iiiiiiiiiiPKifff14rope_corr_dimsfPKfPKli,"axG",@progbits,_ZL9rope_normILb0ELb1Ef6__halfEvPKT1_PT2_iiiiiiiiiiPKifff14rope_corr_dimsfPKfPKli,comdat
.Lfunc_end37:
	.size	_ZL9rope_normILb0ELb1Ef6__halfEvPKT1_PT2_iiiiiiiiiiPKifff14rope_corr_dimsfPKfPKli, .Lfunc_end37-_ZL9rope_normILb0ELb1Ef6__halfEvPKT1_PT2_iiiiiiiiiiPKifff14rope_corr_dimsfPKfPKli
                                        ; -- End function
	.set _ZL9rope_normILb0ELb1Ef6__halfEvPKT1_PT2_iiiiiiiiiiPKifff14rope_corr_dimsfPKfPKli.num_vgpr, 23
	.set _ZL9rope_normILb0ELb1Ef6__halfEvPKT1_PT2_iiiiiiiiiiPKifff14rope_corr_dimsfPKfPKli.num_agpr, 0
	.set _ZL9rope_normILb0ELb1Ef6__halfEvPKT1_PT2_iiiiiiiiiiPKifff14rope_corr_dimsfPKfPKli.numbered_sgpr, 19
	.set _ZL9rope_normILb0ELb1Ef6__halfEvPKT1_PT2_iiiiiiiiiiPKifff14rope_corr_dimsfPKfPKli.num_named_barrier, 0
	.set _ZL9rope_normILb0ELb1Ef6__halfEvPKT1_PT2_iiiiiiiiiiPKifff14rope_corr_dimsfPKfPKli.private_seg_size, 0
	.set _ZL9rope_normILb0ELb1Ef6__halfEvPKT1_PT2_iiiiiiiiiiPKifff14rope_corr_dimsfPKfPKli.uses_vcc, 1
	.set _ZL9rope_normILb0ELb1Ef6__halfEvPKT1_PT2_iiiiiiiiiiPKifff14rope_corr_dimsfPKfPKli.uses_flat_scratch, 0
	.set _ZL9rope_normILb0ELb1Ef6__halfEvPKT1_PT2_iiiiiiiiiiPKifff14rope_corr_dimsfPKfPKli.has_dyn_sized_stack, 0
	.set _ZL9rope_normILb0ELb1Ef6__halfEvPKT1_PT2_iiiiiiiiiiPKifff14rope_corr_dimsfPKfPKli.has_recursion, 0
	.set _ZL9rope_normILb0ELb1Ef6__halfEvPKT1_PT2_iiiiiiiiiiPKifff14rope_corr_dimsfPKfPKli.has_indirect_call, 0
	.section	.AMDGPU.csdata,"",@progbits
; Kernel info:
; codeLenInByte = 3800
; TotalNumSgprs: 23
; NumVgprs: 23
; ScratchSize: 0
; MemoryBound: 0
; FloatMode: 240
; IeeeMode: 1
; LDSByteSize: 0 bytes/workgroup (compile time only)
; SGPRBlocks: 2
; VGPRBlocks: 5
; NumSGPRsForWavesPerEU: 23
; NumVGPRsForWavesPerEU: 23
; Occupancy: 10
; WaveLimiterHint : 0
; COMPUTE_PGM_RSRC2:SCRATCH_EN: 0
; COMPUTE_PGM_RSRC2:USER_SGPR: 6
; COMPUTE_PGM_RSRC2:TRAP_HANDLER: 0
; COMPUTE_PGM_RSRC2:TGID_X_EN: 1
; COMPUTE_PGM_RSRC2:TGID_Y_EN: 1
; COMPUTE_PGM_RSRC2:TGID_Z_EN: 0
; COMPUTE_PGM_RSRC2:TIDIG_COMP_CNT: 1
	.section	.text._ZL9rope_normILb0ELb0E6__halfS0_EvPKT1_PT2_iiiiiiiiiiPKifff14rope_corr_dimsfPKfPKli,"axG",@progbits,_ZL9rope_normILb0ELb0E6__halfS0_EvPKT1_PT2_iiiiiiiiiiPKifff14rope_corr_dimsfPKfPKli,comdat
	.globl	_ZL9rope_normILb0ELb0E6__halfS0_EvPKT1_PT2_iiiiiiiiiiPKifff14rope_corr_dimsfPKfPKli ; -- Begin function _ZL9rope_normILb0ELb0E6__halfS0_EvPKT1_PT2_iiiiiiiiiiPKifff14rope_corr_dimsfPKfPKli
	.p2align	8
	.type	_ZL9rope_normILb0ELb0E6__halfS0_EvPKT1_PT2_iiiiiiiiiiPKifff14rope_corr_dimsfPKfPKli,@function
_ZL9rope_normILb0ELb0E6__halfS0_EvPKT1_PT2_iiiiiiiiiiPKifff14rope_corr_dimsfPKfPKli: ; @_ZL9rope_normILb0ELb0E6__halfS0_EvPKT1_PT2_iiiiiiiiiiPKifff14rope_corr_dimsfPKfPKli
; %bb.0:
	s_load_dword s2, s[4:5], 0x7c
	s_load_dwordx8 s[8:15], s[4:5], 0x10
	s_add_u32 s0, s4, 0x70
	s_addc_u32 s1, s5, 0
	s_waitcnt lgkmcnt(0)
	s_lshr_b32 s2, s2, 16
	s_mul_i32 s7, s7, s2
	v_add_lshl_u32 v1, s7, v1, 1
	v_cmp_gt_i32_e32 vcc, s8, v1
	s_and_saveexec_b64 s[2:3], vcc
	s_cbranch_execz .LBB38_20
; %bb.1:
	s_mul_i32 s2, s10, s9
	s_abs_i32 s3, s2
	v_cvt_f32_u32_e32 v2, s3
	s_load_dword s0, s[0:1], 0xc
	s_sub_i32 s1, 0, s3
	v_cvt_f32_u32_e32 v3, s9
	v_rcp_iflag_f32_e32 v2, v2
	s_waitcnt lgkmcnt(0)
	s_and_b32 s0, s0, 0xffff
	s_mul_i32 s6, s6, s0
	v_mul_f32_e32 v2, 0x4f7ffffe, v2
	v_cvt_u32_f32_e32 v2, v2
	v_add_u32_e32 v5, s6, v0
	v_sub_u32_e32 v0, 0, v5
	v_max_i32_e32 v0, v5, v0
	v_mul_lo_u32 v4, s1, v2
	v_rcp_iflag_f32_e32 v3, v3
	s_sub_i32 s0, 0, s9
	v_xor_b32_e32 v6, s2, v5
	v_mul_hi_u32 v4, v2, v4
	v_mul_f32_e32 v3, 0x4f7ffffe, v3
	v_cvt_u32_f32_e32 v3, v3
	v_ashrrev_i32_e32 v6, 31, v6
	v_add_u32_e32 v2, v2, v4
	v_mul_hi_u32 v2, v0, v2
	v_mul_lo_u32 v4, s0, v3
	s_load_dwordx2 s[0:1], s[4:5], 0x30
	v_mul_lo_u32 v7, v2, s3
	v_add_u32_e32 v8, 1, v2
	v_mul_hi_u32 v4, v3, v4
	v_sub_u32_e32 v0, v0, v7
	v_cmp_le_u32_e32 vcc, s3, v0
	v_subrev_u32_e32 v7, s3, v0
	v_cndmask_b32_e32 v2, v2, v8, vcc
	v_cndmask_b32_e32 v0, v0, v7, vcc
	v_add_u32_e32 v7, 1, v2
	v_cmp_le_u32_e32 vcc, s3, v0
	v_cndmask_b32_e32 v0, v2, v7, vcc
	v_xor_b32_e32 v0, v0, v6
	v_sub_u32_e32 v0, v0, v6
	v_mul_lo_u32 v2, s2, v0
	v_add_u32_e32 v3, v3, v4
	s_load_dword s2, s[4:5], 0x68
	v_sub_u32_e32 v4, v5, v2
	v_mul_hi_u32 v2, v4, v3
	s_waitcnt lgkmcnt(0)
	s_cmp_eq_u32 s2, 0
	v_mul_lo_u32 v3, v2, s9
	v_add_u32_e32 v5, 1, v2
	v_sub_u32_e32 v3, v4, v3
	v_cmp_le_u32_e32 vcc, s9, v3
	v_cndmask_b32_e32 v2, v2, v5, vcc
	v_subrev_u32_e32 v5, s9, v3
	v_cndmask_b32_e32 v3, v3, v5, vcc
	v_add_u32_e32 v5, 1, v2
	v_cmp_le_u32_e32 vcc, s9, v3
	v_cndmask_b32_e32 v5, v2, v5, vcc
	s_cbranch_scc1 .LBB38_3
; %bb.2:
	s_load_dwordx2 s[6:7], s[4:5], 0x60
	v_mov_b32_e32 v6, 0
	v_lshlrev_b64 v[2:3], 3, v[5:6]
	s_waitcnt lgkmcnt(0)
	v_mov_b32_e32 v6, s7
	v_add_co_u32_e32 v2, vcc, s6, v2
	v_addc_co_u32_e32 v3, vcc, v6, v3, vcc
	global_load_dword v2, v[2:3], off
	s_waitcnt vmcnt(0)
	v_mul_lo_u32 v2, s2, v2
	s_branch .LBB38_4
.LBB38_3:
	v_mul_lo_u32 v2, v0, s0
	v_mad_u64_u32 v[2:3], s[2:3], v5, s15, v[2:3]
.LBB38_4:
	v_mul_lo_u32 v3, v5, s9
	v_mad_u64_u32 v[6:7], s[2:3], v0, s13, v[1:2]
	v_mul_lo_u32 v8, v5, s12
	v_sub_u32_e32 v0, v4, v3
	v_mul_lo_u32 v3, v0, s11
	s_load_dwordx4 s[8:11], s[4:5], 0x0
	v_cmp_le_i32_e32 vcc, s1, v1
	v_add3_u32 v3, v6, v8, v3
	v_ashrrev_i32_e32 v4, 31, v3
                                        ; implicit-def: $vgpr6
	s_and_saveexec_b64 s[0:1], vcc
	s_xor_b64 s[0:1], exec, s[0:1]
	s_cbranch_execz .LBB38_6
; %bb.5:
	v_lshlrev_b64 v[3:4], 1, v[3:4]
	s_waitcnt lgkmcnt(0)
	v_mov_b32_e32 v5, s9
	v_add_co_u32_e32 v3, vcc, s8, v3
	v_addc_co_u32_e32 v4, vcc, v5, v4, vcc
	global_load_dword v6, v[3:4], off
                                        ; implicit-def: $vgpr3
                                        ; implicit-def: $vgpr5
.LBB38_6:
	s_andn2_saveexec_b64 s[6:7], s[0:1]
	s_cbranch_execz .LBB38_19
; %bb.7:
	s_load_dwordx2 s[0:1], s[4:5], 0x38
	s_waitcnt vmcnt(0)
	v_mov_b32_e32 v6, 0
	v_lshlrev_b64 v[5:6], 2, v[5:6]
	v_mov_b32_e32 v10, 0x3e91f4c4
	v_mov_b32_e32 v11, 0x3ecccdef
	s_waitcnt lgkmcnt(0)
	v_mov_b32_e32 v7, s1
	v_add_co_u32_e32 v5, vcc, s0, v5
	v_addc_co_u32_e32 v6, vcc, v7, v6, vcc
	global_load_dword v7, v[5:6], off
	s_load_dwordx4 s[16:19], s[4:5], 0x40
	s_load_dwordx2 s[12:13], s[4:5], 0x50
	v_cvt_f32_i32_e32 v5, v1
	s_mov_b32 s0, 0x3f2aaaab
	s_mov_b32 s1, 0x3f317218
	s_movk_i32 s5, 0x204
	v_mul_f32_e32 v5, 0.5, v5
	s_waitcnt lgkmcnt(0)
	v_cmp_neq_f32_e64 vcc, s13, 1.0
	v_cndmask_b32_e32 v6, 1.0, v5, vcc
	v_mov_b32_e32 v5, s13
	v_cmp_neq_f32_e32 vcc, 0, v6
	v_cndmask_b32_e32 v5, 1.0, v5, vcc
	v_frexp_mant_f32_e64 v12, |v5|
	v_cmp_gt_f32_e32 vcc, s0, v12
	v_cndmask_b32_e64 v13, 1.0, 2.0, vcc
	v_mul_f32_e32 v12, v12, v13
	v_add_f32_e32 v14, 1.0, v12
	v_cvt_f64_f32_e64 v[8:9], |v5|
	v_rcp_f32_e32 v15, v14
	v_add_f32_e32 v13, -1.0, v12
	v_add_f32_e32 v16, -1.0, v14
	v_frexp_exp_i32_f64_e32 v8, v[8:9]
	v_sub_f32_e32 v9, v12, v16
	v_mul_f32_e32 v12, v13, v15
	v_mul_f32_e32 v16, v14, v12
	v_fma_f32 v14, v12, v14, -v16
	v_fmac_f32_e32 v14, v12, v9
	v_add_f32_e32 v9, v16, v14
	v_sub_f32_e32 v17, v13, v9
	v_sub_f32_e32 v16, v9, v16
	;; [unrolled: 1-line block ×5, first 2 shown]
	v_add_f32_e32 v9, v14, v9
	v_add_f32_e32 v9, v17, v9
	v_mul_f32_e32 v9, v15, v9
	v_add_f32_e32 v14, v12, v9
	v_sub_f32_e32 v12, v14, v12
	v_mul_f32_e32 v15, v14, v14
	v_sub_f32_e32 v9, v9, v12
	v_fma_f32 v12, v14, v14, -v15
	v_add_f32_e32 v16, v9, v9
	v_fmac_f32_e32 v12, v14, v16
	v_add_f32_e32 v16, v15, v12
	v_fmac_f32_e32 v10, 0x3e76c4e1, v16
	v_sub_f32_e32 v15, v16, v15
	v_mul_f32_e32 v17, v14, v16
	v_fmac_f32_e32 v11, v16, v10
	v_sub_f32_e32 v10, v12, v15
	v_fma_f32 v12, v16, v14, -v17
	v_fmac_f32_e32 v12, v16, v9
	v_mul_f32_e32 v15, v16, v11
	v_fmac_f32_e32 v12, v10, v14
	v_fma_f32 v16, v16, v11, -v15
	v_add_f32_e32 v18, v17, v12
	v_fmac_f32_e32 v16, v10, v11
	v_sub_f32_e32 v10, v18, v17
	v_add_f32_e32 v11, v15, v16
	v_sub_f32_e32 v10, v12, v10
	v_add_f32_e32 v12, 0x3f2aaaaa, v11
	v_sub_f32_e32 v15, v11, v15
	v_sub_f32_e32 v15, v16, v15
	v_add_f32_e32 v16, 0xbf2aaaaa, v12
	v_subbrev_co_u32_e32 v8, vcc, 0, v8, vcc
	v_add_f32_e32 v15, 0x31739010, v15
	v_sub_f32_e32 v11, v11, v16
	v_cvt_f32_i32_e32 v8, v8
	v_add_f32_e32 v11, v15, v11
	v_add_f32_e32 v15, v12, v11
	v_sub_f32_e32 v12, v12, v15
	v_mul_f32_e32 v16, v18, v15
	v_add_f32_e32 v11, v11, v12
	v_fma_f32 v12, v18, v15, -v16
	v_mul_f32_e32 v13, 0x3f317218, v8
	v_fmac_f32_e32 v12, v18, v11
	v_fmac_f32_e32 v12, v10, v15
	v_fma_f32 v10, v8, s1, -v13
	v_fmac_f32_e32 v10, 0xb102e308, v8
	v_add_f32_e32 v11, v13, v10
	v_sub_f32_e32 v13, v11, v13
	v_sub_f32_e32 v10, v10, v13
	v_add_f32_e32 v13, v16, v12
	v_ldexp_f32 v8, v9, 1
	v_ldexp_f32 v9, v14, 1
	v_sub_f32_e32 v14, v13, v16
	v_sub_f32_e32 v12, v12, v14
	v_add_f32_e32 v14, v9, v13
	v_sub_f32_e32 v9, v14, v9
	v_sub_f32_e32 v9, v13, v9
	v_add_f32_e32 v8, v8, v12
	v_add_f32_e32 v8, v8, v9
	v_add_f32_e32 v9, v14, v8
	v_sub_f32_e32 v12, v9, v14
	v_sub_f32_e32 v8, v8, v12
	v_add_f32_e32 v12, v11, v9
	v_sub_f32_e32 v13, v12, v11
	v_sub_f32_e32 v14, v12, v13
	;; [unrolled: 1-line block ×4, first 2 shown]
	v_add_f32_e32 v9, v9, v11
	v_add_f32_e32 v11, v10, v8
	v_sub_f32_e32 v13, v11, v10
	v_sub_f32_e32 v14, v11, v13
	;; [unrolled: 1-line block ×4, first 2 shown]
	v_add_f32_e32 v9, v11, v9
	v_add_f32_e32 v8, v8, v10
	;; [unrolled: 1-line block ×3, first 2 shown]
	v_sub_f32_e32 v11, v10, v12
	v_sub_f32_e32 v9, v9, v11
	v_add_f32_e32 v8, v8, v9
	v_add_f32_e32 v9, v10, v8
	v_sub_f32_e32 v10, v9, v10
	v_sub_f32_e32 v8, v8, v10
	v_mul_f32_e32 v10, v6, v9
	v_fma_f32 v9, v6, v9, -v10
	v_fmac_f32_e32 v9, v6, v8
	v_add_f32_e32 v8, v10, v9
	v_cmp_class_f32_e64 vcc, v10, s5
	v_sub_f32_e32 v11, v8, v10
	v_cndmask_b32_e32 v8, v8, v10, vcc
	s_mov_b32 s0, 0x42b17218
	v_mov_b32_e32 v10, 0x37000000
	v_cmp_eq_f32_e32 vcc, s0, v8
	v_cndmask_b32_e32 v10, 0, v10, vcc
	v_sub_f32_e32 v9, v9, v11
	v_sub_f32_e32 v11, v8, v10
	s_mov_b32 s1, 0x3fb8aa3b
	v_mul_f32_e32 v12, 0x3fb8aa3b, v11
	v_fma_f32 v13, v11, s1, -v12
	v_rndne_f32_e32 v14, v12
	v_fmac_f32_e32 v13, 0x32a5705f, v11
	v_sub_f32_e32 v12, v12, v14
	v_add_f32_e32 v12, v12, v13
	v_exp_f32_e32 v12, v12
	v_cvt_i32_f32_e32 v13, v14
	s_mov_b32 s4, 0x7f800000
	v_cmp_neq_f32_e64 vcc, |v8|, s4
	s_mov_b32 s1, 0xc2ce8ed0
	v_cndmask_b32_e32 v8, 0, v9, vcc
	v_ldexp_f32 v9, v12, v13
	v_cmp_ngt_f32_e32 vcc, s1, v11
	v_add_f32_e32 v8, v10, v8
	v_cndmask_b32_e32 v9, 0, v9, vcc
	v_mov_b32_e32 v10, 0x7f800000
	v_cmp_nlt_f32_e32 vcc, s0, v11
	v_cndmask_b32_e32 v9, v10, v9, vcc
	v_fma_f32 v8, v9, v8, v9
	v_cmp_class_f32_e64 vcc, v9, s5
	v_cndmask_b32_e32 v8, v8, v9, vcc
	v_trunc_f32_e32 v9, v6
	v_cmp_eq_f32_e32 vcc, v9, v6
	v_mul_f32_e32 v9, 0.5, v6
	v_trunc_f32_e32 v12, v9
	v_cmp_neq_f32_e64 s[0:1], v12, v9
	s_and_b64 s[0:1], vcc, s[0:1]
	v_cndmask_b32_e64 v9, 1.0, v5, s[0:1]
	s_brev_b32 s13, -2
	v_mov_b32_e32 v11, 0x7fc00000
	v_bfi_b32 v8, s13, v8, v9
	v_cmp_neq_f32_e64 s[2:3], v6, |v6|
	v_cmp_lt_f32_e64 s[20:21], |v5|, 1.0
	v_cndmask_b32_e32 v9, v11, v8, vcc
	v_cmp_gt_f32_e32 vcc, 0, v5
	s_xor_b64 s[2:3], s[2:3], s[20:21]
	v_cndmask_b32_e32 v8, v8, v9, vcc
	v_cndmask_b32_e64 v9, v10, 0, s[2:3]
	v_cmp_neq_f32_e64 vcc, |v5|, 1.0
	v_cndmask_b32_e32 v9, 1.0, v9, vcc
	v_cmp_class_f32_e64 vcc, v6, s5
	v_cndmask_b32_e32 v8, v8, v9, vcc
	v_cmp_eq_f32_e32 vcc, 0, v5
	v_cmp_gt_f32_e64 s[2:3], 0, v6
	s_xor_b64 s[2:3], s[2:3], vcc
	s_waitcnt vmcnt(0)
	v_cvt_f32_i32_e32 v7, v7
	v_cmp_class_f32_e64 s[20:21], v5, s5
	v_cndmask_b32_e64 v6, v10, 0, s[2:3]
	v_cndmask_b32_e64 v9, 0, v5, s[0:1]
	v_bfi_b32 v6, s13, v6, v9
	s_or_b64 vcc, vcc, s[20:21]
	v_cndmask_b32_e32 v6, v8, v6, vcc
	v_cmp_o_f32_e32 vcc, v5, v5
	v_cndmask_b32_e32 v5, v11, v6, vcc
	v_mul_f32_e32 v7, v5, v7
	v_cmp_eq_f32_e64 s[0:1], s17, 0
	v_mul_f32_e32 v5, s16, v7
	s_and_b64 vcc, exec, s[0:1]
	s_cbranch_vccnz .LBB38_9
; %bb.8:
	v_ashrrev_i32_e32 v6, 1, v1
	v_cvt_f32_i32_e32 v6, v6
	v_div_scale_f32 v9, s[0:1], s16, s16, 1.0
	v_mov_b32_e32 v8, s19
	v_sub_f32_e32 v8, s12, v8
	v_subrev_f32_e32 v6, s19, v6
	v_max_f32_e32 v8, 0x3a83126f, v8
	v_div_scale_f32 v10, s[0:1], v8, v8, v6
	v_div_scale_f32 v11, s[0:1], 1.0, s16, 1.0
	v_div_scale_f32 v12, vcc, v6, v8, v6
	s_mov_b32 s2, 0x3f317217
	v_rcp_f32_e32 v13, v9
	v_fma_f32 v14, -v9, v13, 1.0
	v_fmac_f32_e32 v13, v14, v13
	v_rcp_f32_e32 v14, v10
	v_mul_f32_e32 v15, v11, v13
	v_fma_f32 v16, -v9, v15, v11
	v_fmac_f32_e32 v15, v16, v13
	v_fma_f32 v9, -v9, v15, v11
	v_fma_f32 v11, -v10, v14, 1.0
	v_fmac_f32_e32 v14, v11, v14
	v_mul_f32_e32 v11, v12, v14
	v_fma_f32 v16, -v10, v11, v12
	v_fmac_f32_e32 v11, v16, v14
	v_fma_f32 v10, -v10, v11, v12
	v_div_fmas_f32 v10, v10, v14, v11
	s_mov_b64 vcc, s[0:1]
	v_div_fmas_f32 v9, v9, v13, v15
	s_mov_b32 s0, 0x800000
	v_mov_b32_e32 v11, 0x41b17218
	v_div_fixup_f32 v6, v10, v8, v6 clamp
	v_sub_f32_e32 v6, 1.0, v6
	v_div_fixup_f32 v8, v9, s16, 1.0
	v_cmp_gt_f32_e32 vcc, s0, v8
	s_and_b64 s[0:1], vcc, exec
	s_cselect_b32 s0, 32, 0
	v_ldexp_f32 v8, v8, s0
	v_log_f32_e32 v8, v8
	v_mul_f32_e32 v9, s17, v6
	v_fma_f32 v6, -s17, v6, 1.0
	v_mul_f32_e32 v5, v6, v5
	v_mul_f32_e32 v6, 0x3f317217, v8
	v_fma_f32 v6, v8, s2, -v6
	v_fmac_f32_e32 v6, 0x3377d1cf, v8
	v_cndmask_b32_e32 v10, 0, v11, vcc
	v_fmac_f32_e32 v6, 0x3f317217, v8
	v_cmp_lt_f32_e64 vcc, |v8|, s4
	v_cndmask_b32_e32 v6, v8, v6, vcc
	v_sub_f32_e32 v6, v6, v10
	s_mov_b32 s0, 0x3dcccccd
	v_fma_f32 v6, v6, s0, 1.0
	v_fmac_f32_e32 v5, v9, v7
	v_mul_f32_e32 v6, s18, v6
	s_branch .LBB38_10
.LBB38_9:
	v_mov_b32_e32 v6, s18
.LBB38_10:
	v_and_b32_e32 v7, 0x7fffffff, v5
	s_brev_b32 s0, 18
	v_cmp_nlt_f32_e64 s[12:13], |v5|, s0
	v_lshrrev_b32_e32 v10, 23, v7
                                        ; implicit-def: $vgpr9
                                        ; implicit-def: $vgpr8
	s_and_saveexec_b64 s[0:1], s[12:13]
	s_xor_b64 s[16:17], exec, s[0:1]
	s_cbranch_execz .LBB38_12
; %bb.11:
	v_and_b32_e32 v8, 0x7fffff, v7
	v_or_b32_e32 v19, 0x800000, v8
	s_mov_b32 s0, 0xfe5163ab
	v_mad_u64_u32 v[8:9], s[0:1], v19, s0, 0
	v_mov_b32_e32 v12, 0
	s_mov_b32 s0, 0x3c439041
	v_mov_b32_e32 v11, v9
	v_mad_u64_u32 v[13:14], s[0:1], v19, s0, v[11:12]
	s_mov_b32 s0, 0xdb629599
	v_add_u32_e32 v9, 0xffffff88, v10
	v_mov_b32_e32 v11, v14
	v_mad_u64_u32 v[14:15], s[0:1], v19, s0, v[11:12]
	s_mov_b32 s0, 0xf534ddc0
	v_not_b32_e32 v18, 63
	v_mov_b32_e32 v11, v15
	v_mad_u64_u32 v[15:16], s[0:1], v19, s0, v[11:12]
	s_mov_b32 s0, 0xfc2757d1
	v_cmp_lt_u32_e32 vcc, 63, v9
	v_mov_b32_e32 v11, v16
	v_mad_u64_u32 v[16:17], s[0:1], v19, s0, v[11:12]
	v_cndmask_b32_e32 v11, 0, v18, vcc
	v_add_u32_e32 v9, v11, v9
	v_mov_b32_e32 v11, v17
	s_mov_b32 s0, 0x4e441529
	v_mad_u64_u32 v[17:18], s[0:1], v19, s0, v[11:12]
	v_not_b32_e32 v20, 31
	v_cmp_lt_u32_e64 s[0:1], 31, v9
	v_cndmask_b32_e64 v11, 0, v20, s[0:1]
	v_add_u32_e32 v9, v11, v9
	v_mov_b32_e32 v11, v18
	s_mov_b32 s2, 0xa2f9836e
	v_mad_u64_u32 v[11:12], s[2:3], v19, s2, v[11:12]
	v_cmp_lt_u32_e64 s[2:3], 31, v9
	v_cndmask_b32_e64 v18, 0, v20, s[2:3]
	v_add_u32_e32 v9, v18, v9
	v_cndmask_b32_e32 v18, v17, v15, vcc
	v_cndmask_b32_e32 v11, v11, v16, vcc
	;; [unrolled: 1-line block ×3, first 2 shown]
	v_cndmask_b32_e64 v19, v11, v18, s[0:1]
	v_cndmask_b32_e64 v11, v12, v11, s[0:1]
	v_cndmask_b32_e32 v12, v16, v14, vcc
	v_cndmask_b32_e64 v16, v18, v12, s[0:1]
	v_cndmask_b32_e64 v11, v11, v19, s[2:3]
	;; [unrolled: 1-line block ×3, first 2 shown]
	v_sub_u32_e32 v18, 32, v9
	v_alignbit_b32 v19, v11, v17, v18
	v_cmp_eq_u32_e64 s[4:5], 0, v9
	v_cndmask_b32_e64 v9, v19, v11, s[4:5]
	v_cndmask_b32_e32 v11, v15, v13, vcc
	v_cndmask_b32_e64 v12, v12, v11, s[0:1]
	v_cndmask_b32_e64 v13, v16, v12, s[2:3]
	v_alignbit_b32 v15, v17, v13, v18
	v_cndmask_b32_e32 v8, v14, v8, vcc
	v_cndmask_b32_e64 v15, v15, v17, s[4:5]
	v_bfe_u32 v19, v9, 29, 1
	v_cndmask_b32_e64 v8, v11, v8, s[0:1]
	v_alignbit_b32 v16, v9, v15, 30
	v_sub_u32_e32 v20, 0, v19
	v_cndmask_b32_e64 v8, v12, v8, s[2:3]
	v_xor_b32_e32 v16, v16, v20
	v_alignbit_b32 v11, v13, v8, v18
	v_cndmask_b32_e64 v11, v11, v13, s[4:5]
	v_ffbh_u32_e32 v13, v16
	v_alignbit_b32 v12, v15, v11, 30
	v_min_u32_e32 v13, 32, v13
	v_alignbit_b32 v8, v11, v8, 30
	v_xor_b32_e32 v12, v12, v20
	v_sub_u32_e32 v14, 31, v13
	v_xor_b32_e32 v8, v8, v20
	v_alignbit_b32 v15, v16, v12, v14
	v_alignbit_b32 v8, v12, v8, v14
	;; [unrolled: 1-line block ×3, first 2 shown]
	v_ffbh_u32_e32 v12, v11
	v_min_u32_e32 v12, 32, v12
	v_lshrrev_b32_e32 v17, 29, v9
	v_not_b32_e32 v14, v12
	v_alignbit_b32 v8, v11, v8, v14
	v_lshlrev_b32_e32 v11, 31, v17
	v_or_b32_e32 v14, 0x33000000, v11
	v_add_lshl_u32 v12, v12, v13, 23
	v_lshrrev_b32_e32 v8, 9, v8
	v_sub_u32_e32 v12, v14, v12
	v_or_b32_e32 v11, 0.5, v11
	v_lshlrev_b32_e32 v13, 23, v13
	v_or_b32_e32 v8, v12, v8
	v_lshrrev_b32_e32 v12, 9, v15
	v_sub_u32_e32 v11, v11, v13
	v_or_b32_e32 v11, v12, v11
	s_mov_b32 s0, 0x3fc90fda
	v_mul_f32_e32 v12, 0x3fc90fda, v11
	v_fma_f32 v13, v11, s0, -v12
	v_fmac_f32_e32 v13, 0x33a22168, v11
	v_fmac_f32_e32 v13, 0x3fc90fda, v8
	v_lshrrev_b32_e32 v9, 30, v9
	v_add_f32_e32 v8, v12, v13
	v_add_u32_e32 v9, v19, v9
	s_andn2_saveexec_b64 s[0:1], s[16:17]
	s_cbranch_execz .LBB38_14
	s_branch .LBB38_13
.LBB38_12:
	s_andn2_saveexec_b64 s[0:1], s[16:17]
	s_cbranch_execz .LBB38_14
.LBB38_13:
	s_mov_b32 s2, 0x3f22f983
	v_mul_f32_e64 v8, |v5|, s2
	v_rndne_f32_e32 v11, v8
	s_mov_b32 s2, 0xbfc90fda
	v_cvt_i32_f32_e32 v9, v11
	v_fma_f32 v8, v11, s2, |v5|
	v_fmac_f32_e32 v8, 0xb3a22168, v11
	v_fmac_f32_e32 v8, 0xa7c234c4, v11
.LBB38_14:
	s_or_b64 exec, exec, s[0:1]
                                        ; implicit-def: $vgpr12
                                        ; implicit-def: $vgpr11
	s_and_saveexec_b64 s[0:1], s[12:13]
	s_xor_b64 s[12:13], exec, s[0:1]
	s_cbranch_execz .LBB38_16
; %bb.15:
	v_and_b32_e32 v11, 0x7fffff, v7
	v_or_b32_e32 v20, 0x800000, v11
	s_mov_b32 s0, 0xfe5163ab
	v_mad_u64_u32 v[11:12], s[0:1], v20, s0, 0
	v_mov_b32_e32 v13, 0
	s_mov_b32 s0, 0x3c439041
	v_mad_u64_u32 v[14:15], s[0:1], v20, s0, v[12:13]
	s_mov_b32 s0, 0xdb629599
	v_add_u32_e32 v10, 0xffffff88, v10
	v_mov_b32_e32 v12, v15
	v_mad_u64_u32 v[15:16], s[0:1], v20, s0, v[12:13]
	s_mov_b32 s0, 0xf534ddc0
	v_not_b32_e32 v19, 63
	v_mov_b32_e32 v12, v16
	v_mad_u64_u32 v[16:17], s[0:1], v20, s0, v[12:13]
	s_mov_b32 s0, 0xfc2757d1
	v_cmp_lt_u32_e32 vcc, 63, v10
	v_mov_b32_e32 v12, v17
	v_mad_u64_u32 v[17:18], s[0:1], v20, s0, v[12:13]
	v_cndmask_b32_e32 v12, 0, v19, vcc
	v_add_u32_e32 v10, v12, v10
	v_mov_b32_e32 v12, v18
	s_mov_b32 s0, 0x4e441529
	v_mad_u64_u32 v[18:19], s[0:1], v20, s0, v[12:13]
	v_not_b32_e32 v21, 31
	v_cmp_lt_u32_e64 s[0:1], 31, v10
	v_cndmask_b32_e64 v12, 0, v21, s[0:1]
	v_add_u32_e32 v10, v12, v10
	v_mov_b32_e32 v12, v19
	s_mov_b32 s2, 0xa2f9836e
	v_mad_u64_u32 v[12:13], s[2:3], v20, s2, v[12:13]
	v_cmp_lt_u32_e64 s[2:3], 31, v10
	v_cndmask_b32_e64 v19, 0, v21, s[2:3]
	v_add_u32_e32 v10, v19, v10
	v_cndmask_b32_e32 v19, v18, v16, vcc
	v_cndmask_b32_e32 v12, v12, v17, vcc
	;; [unrolled: 1-line block ×3, first 2 shown]
	v_cndmask_b32_e64 v20, v12, v19, s[0:1]
	v_cndmask_b32_e64 v12, v13, v12, s[0:1]
	v_cndmask_b32_e32 v13, v17, v15, vcc
	v_cndmask_b32_e64 v17, v19, v13, s[0:1]
	v_cndmask_b32_e64 v12, v12, v20, s[2:3]
	;; [unrolled: 1-line block ×3, first 2 shown]
	v_sub_u32_e32 v19, 32, v10
	v_alignbit_b32 v20, v12, v18, v19
	v_cmp_eq_u32_e64 s[4:5], 0, v10
	v_cndmask_b32_e64 v10, v20, v12, s[4:5]
	v_cndmask_b32_e32 v12, v16, v14, vcc
	v_cndmask_b32_e64 v13, v13, v12, s[0:1]
	v_cndmask_b32_e64 v14, v17, v13, s[2:3]
	v_alignbit_b32 v16, v18, v14, v19
	v_cndmask_b32_e32 v11, v15, v11, vcc
	v_cndmask_b32_e64 v16, v16, v18, s[4:5]
	v_bfe_u32 v20, v10, 29, 1
	v_cndmask_b32_e64 v11, v12, v11, s[0:1]
	v_alignbit_b32 v17, v10, v16, 30
	v_sub_u32_e32 v21, 0, v20
	v_cndmask_b32_e64 v11, v13, v11, s[2:3]
	v_xor_b32_e32 v17, v17, v21
	v_alignbit_b32 v12, v14, v11, v19
	v_cndmask_b32_e64 v12, v12, v14, s[4:5]
	v_ffbh_u32_e32 v14, v17
	v_alignbit_b32 v13, v16, v12, 30
	v_min_u32_e32 v14, 32, v14
	v_alignbit_b32 v11, v12, v11, 30
	v_xor_b32_e32 v13, v13, v21
	v_sub_u32_e32 v15, 31, v14
	v_xor_b32_e32 v11, v11, v21
	v_alignbit_b32 v16, v17, v13, v15
	v_alignbit_b32 v11, v13, v11, v15
	;; [unrolled: 1-line block ×3, first 2 shown]
	v_ffbh_u32_e32 v13, v12
	v_min_u32_e32 v13, 32, v13
	v_lshrrev_b32_e32 v18, 29, v10
	v_not_b32_e32 v15, v13
	v_alignbit_b32 v11, v12, v11, v15
	v_lshlrev_b32_e32 v12, 31, v18
	v_or_b32_e32 v15, 0x33000000, v12
	v_add_lshl_u32 v13, v13, v14, 23
	v_lshrrev_b32_e32 v11, 9, v11
	v_sub_u32_e32 v13, v15, v13
	v_or_b32_e32 v12, 0.5, v12
	v_lshlrev_b32_e32 v14, 23, v14
	v_or_b32_e32 v11, v13, v11
	v_lshrrev_b32_e32 v13, 9, v16
	v_sub_u32_e32 v12, v12, v14
	v_or_b32_e32 v12, v13, v12
	s_mov_b32 s0, 0x3fc90fda
	v_mul_f32_e32 v13, 0x3fc90fda, v12
	v_fma_f32 v14, v12, s0, -v13
	v_fmac_f32_e32 v14, 0x33a22168, v12
	v_fmac_f32_e32 v14, 0x3fc90fda, v11
	v_lshrrev_b32_e32 v10, 30, v10
	v_add_f32_e32 v11, v13, v14
	v_add_u32_e32 v12, v20, v10
	s_andn2_saveexec_b64 s[0:1], s[12:13]
	s_cbranch_execnz .LBB38_17
	s_branch .LBB38_18
.LBB38_16:
	s_andn2_saveexec_b64 s[0:1], s[12:13]
	s_cbranch_execz .LBB38_18
.LBB38_17:
	s_mov_b32 s2, 0x3f22f983
	v_mul_f32_e64 v10, |v5|, s2
	v_rndne_f32_e32 v10, v10
	s_mov_b32 s2, 0xbfc90fda
	v_cvt_i32_f32_e32 v12, v10
	v_fma_f32 v11, v10, s2, |v5|
	v_fmac_f32_e32 v11, 0xb3a22168, v10
	v_fmac_f32_e32 v11, 0xa7c234c4, v10
.LBB38_18:
	s_or_b64 exec, exec, s[0:1]
	v_lshlrev_b64 v[3:4], 1, v[3:4]
	v_mov_b32_e32 v10, s9
	v_add_co_u32_e32 v3, vcc, s8, v3
	v_addc_co_u32_e32 v4, vcc, v10, v4, vcc
	global_load_dword v3, v[3:4], off
	v_mul_f32_e32 v4, v8, v8
	v_mov_b32_e32 v13, 0x3c0881c4
	v_mov_b32_e32 v16, 0xbab64f3b
	;; [unrolled: 1-line block ×6, first 2 shown]
	v_mul_f32_e32 v21, v11, v11
	v_and_b32_e32 v22, 1, v12
	v_lshlrev_b32_e32 v12, 30, v12
	v_fmac_f32_e32 v13, 0xb94c1982, v4
	v_fmac_f32_e32 v16, 0x37d75334, v4
	v_mov_b32_e32 v18, 0xbf000004
	v_xor_b32_e32 v7, v7, v5
	v_fmac_f32_e32 v10, 0xb94c1982, v21
	v_fmac_f32_e32 v15, 0x37d75334, v21
	v_and_b32_e32 v12, 0x80000000, v12
	v_fma_f32 v13, v4, v13, v14
	v_fma_f32 v16, v4, v16, v17
	v_and_b32_e32 v19, 1, v9
	v_fmac_f32_e32 v14, v21, v10
	v_fmac_f32_e32 v17, v21, v15
	v_xor_b32_e32 v7, v7, v12
	v_mul_f32_e32 v10, v4, v13
	v_fma_f32 v12, v4, v16, v18
	v_mul_f32_e32 v13, v21, v14
	v_fmac_f32_e32 v18, v21, v17
	v_fmac_f32_e32 v8, v8, v10
	v_fma_f32 v4, v4, v12, 1.0
	v_cmp_eq_u32_e32 vcc, 0, v19
	v_fmac_f32_e32 v11, v11, v13
	v_fma_f32 v10, v21, v18, 1.0
	v_cndmask_b32_e64 v4, -v8, v4, vcc
	v_cmp_eq_u32_e32 vcc, 0, v22
	s_movk_i32 s0, 0x1f8
	v_cndmask_b32_e32 v8, v10, v11, vcc
	v_mov_b32_e32 v20, 0x7fc00000
	v_xor_b32_e32 v7, v7, v8
	v_cmp_class_f32_e64 vcc, v5, s0
	v_lshlrev_b32_e32 v9, 30, v9
	v_cndmask_b32_e32 v5, v20, v7, vcc
	v_and_b32_e32 v9, 0x80000000, v9
	v_xor_b32_e32 v4, v9, v4
	v_cndmask_b32_e32 v4, v20, v4, vcc
	v_mul_f32_e64 v5, v5, -v6
	v_mul_f32_e32 v4, v6, v4
	s_waitcnt vmcnt(0)
	v_cvt_f32_f16_sdwa v7, v3 dst_sel:DWORD dst_unused:UNUSED_PAD src0_sel:WORD_1
	v_cvt_f32_f16_e32 v8, v3
	v_mul_f32_e32 v6, v5, v7
	v_mul_f32_e32 v5, v5, v8
	v_fma_mixlo_f16 v6, v4, v3, -v6 op_sel_hi:[0,1,0]
	v_fma_mixlo_f16 v3, v4, v3, v5 op_sel:[0,1,0] op_sel_hi:[0,1,0]
	v_lshlrev_b32_e32 v3, 16, v3
	v_or_b32_sdwa v6, v3, v6 dst_sel:DWORD dst_unused:UNUSED_PAD src0_sel:DWORD src1_sel:WORD_0
.LBB38_19:
	s_or_b64 exec, exec, s[6:7]
	v_mul_lo_u32 v0, v0, s14
	s_waitcnt lgkmcnt(0)
	v_mov_b32_e32 v3, s11
	v_add3_u32 v0, v0, v1, v2
	v_ashrrev_i32_e32 v1, 31, v0
	v_lshlrev_b64 v[0:1], 1, v[0:1]
	v_add_co_u32_e32 v0, vcc, s10, v0
	v_addc_co_u32_e32 v1, vcc, v3, v1, vcc
	s_waitcnt vmcnt(0)
	global_store_dword v[0:1], v6, off
.LBB38_20:
	s_endpgm
	.section	.rodata,"a",@progbits
	.p2align	6, 0x0
	.amdhsa_kernel _ZL9rope_normILb0ELb0E6__halfS0_EvPKT1_PT2_iiiiiiiiiiPKifff14rope_corr_dimsfPKfPKli
		.amdhsa_group_segment_fixed_size 0
		.amdhsa_private_segment_fixed_size 0
		.amdhsa_kernarg_size 368
		.amdhsa_user_sgpr_count 6
		.amdhsa_user_sgpr_private_segment_buffer 1
		.amdhsa_user_sgpr_dispatch_ptr 0
		.amdhsa_user_sgpr_queue_ptr 0
		.amdhsa_user_sgpr_kernarg_segment_ptr 1
		.amdhsa_user_sgpr_dispatch_id 0
		.amdhsa_user_sgpr_flat_scratch_init 0
		.amdhsa_user_sgpr_private_segment_size 0
		.amdhsa_uses_dynamic_stack 0
		.amdhsa_system_sgpr_private_segment_wavefront_offset 0
		.amdhsa_system_sgpr_workgroup_id_x 1
		.amdhsa_system_sgpr_workgroup_id_y 1
		.amdhsa_system_sgpr_workgroup_id_z 0
		.amdhsa_system_sgpr_workgroup_info 0
		.amdhsa_system_vgpr_workitem_id 1
		.amdhsa_next_free_vgpr 23
		.amdhsa_next_free_sgpr 22
		.amdhsa_reserve_vcc 1
		.amdhsa_reserve_flat_scratch 0
		.amdhsa_float_round_mode_32 0
		.amdhsa_float_round_mode_16_64 0
		.amdhsa_float_denorm_mode_32 3
		.amdhsa_float_denorm_mode_16_64 3
		.amdhsa_dx10_clamp 1
		.amdhsa_ieee_mode 1
		.amdhsa_fp16_overflow 0
		.amdhsa_exception_fp_ieee_invalid_op 0
		.amdhsa_exception_fp_denorm_src 0
		.amdhsa_exception_fp_ieee_div_zero 0
		.amdhsa_exception_fp_ieee_overflow 0
		.amdhsa_exception_fp_ieee_underflow 0
		.amdhsa_exception_fp_ieee_inexact 0
		.amdhsa_exception_int_div_zero 0
	.end_amdhsa_kernel
	.section	.text._ZL9rope_normILb0ELb0E6__halfS0_EvPKT1_PT2_iiiiiiiiiiPKifff14rope_corr_dimsfPKfPKli,"axG",@progbits,_ZL9rope_normILb0ELb0E6__halfS0_EvPKT1_PT2_iiiiiiiiiiPKifff14rope_corr_dimsfPKfPKli,comdat
.Lfunc_end38:
	.size	_ZL9rope_normILb0ELb0E6__halfS0_EvPKT1_PT2_iiiiiiiiiiPKifff14rope_corr_dimsfPKfPKli, .Lfunc_end38-_ZL9rope_normILb0ELb0E6__halfS0_EvPKT1_PT2_iiiiiiiiiiPKifff14rope_corr_dimsfPKfPKli
                                        ; -- End function
	.set _ZL9rope_normILb0ELb0E6__halfS0_EvPKT1_PT2_iiiiiiiiiiPKifff14rope_corr_dimsfPKfPKli.num_vgpr, 23
	.set _ZL9rope_normILb0ELb0E6__halfS0_EvPKT1_PT2_iiiiiiiiiiPKifff14rope_corr_dimsfPKfPKli.num_agpr, 0
	.set _ZL9rope_normILb0ELb0E6__halfS0_EvPKT1_PT2_iiiiiiiiiiPKifff14rope_corr_dimsfPKfPKli.numbered_sgpr, 22
	.set _ZL9rope_normILb0ELb0E6__halfS0_EvPKT1_PT2_iiiiiiiiiiPKifff14rope_corr_dimsfPKfPKli.num_named_barrier, 0
	.set _ZL9rope_normILb0ELb0E6__halfS0_EvPKT1_PT2_iiiiiiiiiiPKifff14rope_corr_dimsfPKfPKli.private_seg_size, 0
	.set _ZL9rope_normILb0ELb0E6__halfS0_EvPKT1_PT2_iiiiiiiiiiPKifff14rope_corr_dimsfPKfPKli.uses_vcc, 1
	.set _ZL9rope_normILb0ELb0E6__halfS0_EvPKT1_PT2_iiiiiiiiiiPKifff14rope_corr_dimsfPKfPKli.uses_flat_scratch, 0
	.set _ZL9rope_normILb0ELb0E6__halfS0_EvPKT1_PT2_iiiiiiiiiiPKifff14rope_corr_dimsfPKfPKli.has_dyn_sized_stack, 0
	.set _ZL9rope_normILb0ELb0E6__halfS0_EvPKT1_PT2_iiiiiiiiiiPKifff14rope_corr_dimsfPKfPKli.has_recursion, 0
	.set _ZL9rope_normILb0ELb0E6__halfS0_EvPKT1_PT2_iiiiiiiiiiPKifff14rope_corr_dimsfPKfPKli.has_indirect_call, 0
	.section	.AMDGPU.csdata,"",@progbits
; Kernel info:
; codeLenInByte = 3704
; TotalNumSgprs: 26
; NumVgprs: 23
; ScratchSize: 0
; MemoryBound: 0
; FloatMode: 240
; IeeeMode: 1
; LDSByteSize: 0 bytes/workgroup (compile time only)
; SGPRBlocks: 3
; VGPRBlocks: 5
; NumSGPRsForWavesPerEU: 26
; NumVGPRsForWavesPerEU: 23
; Occupancy: 10
; WaveLimiterHint : 0
; COMPUTE_PGM_RSRC2:SCRATCH_EN: 0
; COMPUTE_PGM_RSRC2:USER_SGPR: 6
; COMPUTE_PGM_RSRC2:TRAP_HANDLER: 0
; COMPUTE_PGM_RSRC2:TGID_X_EN: 1
; COMPUTE_PGM_RSRC2:TGID_Y_EN: 1
; COMPUTE_PGM_RSRC2:TGID_Z_EN: 0
; COMPUTE_PGM_RSRC2:TIDIG_COMP_CNT: 1
	.section	.text._ZL9rope_normILb0ELb1E6__halfS0_EvPKT1_PT2_iiiiiiiiiiPKifff14rope_corr_dimsfPKfPKli,"axG",@progbits,_ZL9rope_normILb0ELb1E6__halfS0_EvPKT1_PT2_iiiiiiiiiiPKifff14rope_corr_dimsfPKfPKli,comdat
	.globl	_ZL9rope_normILb0ELb1E6__halfS0_EvPKT1_PT2_iiiiiiiiiiPKifff14rope_corr_dimsfPKfPKli ; -- Begin function _ZL9rope_normILb0ELb1E6__halfS0_EvPKT1_PT2_iiiiiiiiiiPKifff14rope_corr_dimsfPKfPKli
	.p2align	8
	.type	_ZL9rope_normILb0ELb1E6__halfS0_EvPKT1_PT2_iiiiiiiiiiPKifff14rope_corr_dimsfPKfPKli,@function
_ZL9rope_normILb0ELb1E6__halfS0_EvPKT1_PT2_iiiiiiiiiiPKifff14rope_corr_dimsfPKfPKli: ; @_ZL9rope_normILb0ELb1E6__halfS0_EvPKT1_PT2_iiiiiiiiiiPKifff14rope_corr_dimsfPKfPKli
; %bb.0:
	s_load_dword s2, s[4:5], 0x7c
	s_load_dwordx8 s[8:15], s[4:5], 0x10
	s_add_u32 s0, s4, 0x70
	s_addc_u32 s1, s5, 0
	s_waitcnt lgkmcnt(0)
	s_lshr_b32 s2, s2, 16
	s_mul_i32 s7, s7, s2
	v_add_lshl_u32 v1, s7, v1, 1
	v_cmp_gt_i32_e32 vcc, s8, v1
	s_and_saveexec_b64 s[2:3], vcc
	s_cbranch_execz .LBB39_20
; %bb.1:
	s_mul_i32 s2, s10, s9
	s_abs_i32 s3, s2
	v_cvt_f32_u32_e32 v2, s3
	s_load_dword s0, s[0:1], 0xc
	s_sub_i32 s1, 0, s3
	v_cvt_f32_u32_e32 v3, s9
	v_rcp_iflag_f32_e32 v2, v2
	s_load_dword s8, s[4:5], 0x68
	s_waitcnt lgkmcnt(0)
	s_and_b32 s0, s0, 0xffff
	s_mul_i32 s6, s6, s0
	v_mul_f32_e32 v2, 0x4f7ffffe, v2
	v_cvt_u32_f32_e32 v2, v2
	v_add_u32_e32 v5, s6, v0
	v_sub_u32_e32 v0, 0, v5
	v_max_i32_e32 v0, v5, v0
	v_mul_lo_u32 v4, s1, v2
	v_rcp_iflag_f32_e32 v3, v3
	s_sub_i32 s0, 0, s9
	v_xor_b32_e32 v6, s2, v5
	v_mul_hi_u32 v4, v2, v4
	v_mul_f32_e32 v3, 0x4f7ffffe, v3
	v_cvt_u32_f32_e32 v3, v3
	v_ashrrev_i32_e32 v6, 31, v6
	v_add_u32_e32 v2, v2, v4
	v_mul_hi_u32 v2, v0, v2
	v_mul_lo_u32 v4, s0, v3
	s_cmp_eq_u32 s8, 0
	v_mul_lo_u32 v7, v2, s3
	v_add_u32_e32 v8, 1, v2
	v_mul_hi_u32 v4, v3, v4
	v_sub_u32_e32 v0, v0, v7
	v_cmp_le_u32_e32 vcc, s3, v0
	v_subrev_u32_e32 v7, s3, v0
	v_cndmask_b32_e32 v2, v2, v8, vcc
	v_cndmask_b32_e32 v0, v0, v7, vcc
	v_add_u32_e32 v7, 1, v2
	v_cmp_le_u32_e32 vcc, s3, v0
	v_cndmask_b32_e32 v0, v2, v7, vcc
	v_xor_b32_e32 v0, v0, v6
	v_sub_u32_e32 v0, v0, v6
	v_mul_lo_u32 v2, s2, v0
	v_add_u32_e32 v3, v3, v4
	s_load_dwordx2 s[6:7], s[4:5], 0x30
	s_load_dwordx4 s[0:3], s[4:5], 0x58
	v_sub_u32_e32 v4, v5, v2
	v_mul_hi_u32 v2, v4, v3
	v_mul_lo_u32 v3, v2, s9
	v_add_u32_e32 v5, 1, v2
	v_sub_u32_e32 v3, v4, v3
	v_cmp_le_u32_e32 vcc, s9, v3
	v_cndmask_b32_e32 v2, v2, v5, vcc
	v_subrev_u32_e32 v5, s9, v3
	v_cndmask_b32_e32 v3, v3, v5, vcc
	v_add_u32_e32 v5, 1, v2
	v_cmp_le_u32_e32 vcc, s9, v3
	v_cndmask_b32_e32 v5, v2, v5, vcc
	s_cbranch_scc1 .LBB39_3
; %bb.2:
	v_mov_b32_e32 v6, 0
	v_lshlrev_b64 v[2:3], 3, v[5:6]
	s_waitcnt lgkmcnt(0)
	v_mov_b32_e32 v6, s3
	v_add_co_u32_e32 v2, vcc, s2, v2
	v_addc_co_u32_e32 v3, vcc, v6, v3, vcc
	global_load_dword v2, v[2:3], off
	s_waitcnt vmcnt(0)
	v_mul_lo_u32 v2, s8, v2
	s_branch .LBB39_4
.LBB39_3:
	s_waitcnt lgkmcnt(0)
	v_mul_lo_u32 v2, v0, s6
	v_mad_u64_u32 v[2:3], s[2:3], v5, s15, v[2:3]
.LBB39_4:
	v_mul_lo_u32 v3, v5, s9
	v_mad_u64_u32 v[6:7], s[2:3], v0, s13, v[1:2]
	v_mul_lo_u32 v8, v5, s12
	v_sub_u32_e32 v0, v4, v3
	v_mul_lo_u32 v3, v0, s11
	s_load_dwordx4 s[8:11], s[4:5], 0x0
	v_cmp_le_i32_e32 vcc, s7, v1
	v_add3_u32 v3, v6, v8, v3
	v_ashrrev_i32_e32 v4, 31, v3
                                        ; implicit-def: $vgpr6
	s_and_saveexec_b64 s[2:3], vcc
	s_xor_b64 s[2:3], exec, s[2:3]
	s_cbranch_execz .LBB39_6
; %bb.5:
	v_lshlrev_b64 v[3:4], 1, v[3:4]
	s_waitcnt lgkmcnt(0)
	v_mov_b32_e32 v5, s9
	v_add_co_u32_e32 v3, vcc, s8, v3
	v_addc_co_u32_e32 v4, vcc, v5, v4, vcc
	global_load_dword v6, v[3:4], off
                                        ; implicit-def: $vgpr3
                                        ; implicit-def: $vgpr5
.LBB39_6:
	s_andn2_saveexec_b64 s[12:13], s[2:3]
	s_cbranch_execz .LBB39_19
; %bb.7:
	s_load_dwordx2 s[2:3], s[4:5], 0x38
	s_load_dwordx2 s[16:17], s[4:5], 0x50
	s_waitcnt vmcnt(0)
	v_mov_b32_e32 v6, 0
	v_lshlrev_b64 v[5:6], 2, v[5:6]
	v_mov_b32_e32 v11, 0x3e91f4c4
	s_waitcnt lgkmcnt(0)
	v_mov_b32_e32 v7, s3
	v_add_co_u32_e32 v5, vcc, s2, v5
	v_addc_co_u32_e32 v6, vcc, v7, v6, vcc
	global_load_dword v5, v[5:6], off
	v_cvt_f32_i32_e32 v6, v1
	v_cmp_neq_f32_e64 vcc, s17, 1.0
	s_mov_b32 s2, 0x3f2aaaab
	v_mov_b32_e32 v12, 0x3ecccdef
	v_mul_f32_e32 v6, 0.5, v6
	v_cndmask_b32_e32 v8, 1.0, v6, vcc
	v_mov_b32_e32 v6, s17
	v_cmp_neq_f32_e32 vcc, 0, v8
	v_cndmask_b32_e32 v7, 1.0, v6, vcc
	v_frexp_mant_f32_e64 v6, |v7|
	v_cmp_gt_f32_e32 vcc, s2, v6
	v_cvt_f64_f32_e64 v[9:10], |v7|
	v_cndmask_b32_e64 v13, 1.0, 2.0, vcc
	v_mul_f32_e32 v6, v6, v13
	v_add_f32_e32 v14, 1.0, v6
	v_rcp_f32_e32 v15, v14
	v_frexp_exp_i32_f64_e32 v9, v[9:10]
	v_add_f32_e32 v13, -1.0, v6
	v_add_f32_e32 v16, -1.0, v14
	v_mul_f32_e32 v10, v13, v15
	v_sub_f32_e32 v6, v6, v16
	v_mul_f32_e32 v16, v14, v10
	v_fma_f32 v14, v10, v14, -v16
	v_fmac_f32_e32 v14, v10, v6
	v_add_f32_e32 v6, v16, v14
	v_subbrev_co_u32_e32 v9, vcc, 0, v9, vcc
	v_sub_f32_e32 v17, v13, v6
	v_sub_f32_e32 v16, v6, v16
	v_cvt_f32_i32_e32 v18, v9
	v_sub_f32_e32 v9, v13, v17
	v_sub_f32_e32 v13, v16, v14
	;; [unrolled: 1-line block ×3, first 2 shown]
	v_add_f32_e32 v6, v13, v6
	v_add_f32_e32 v6, v17, v6
	v_mul_f32_e32 v6, v15, v6
	v_add_f32_e32 v15, v10, v6
	v_sub_f32_e32 v9, v15, v10
	v_mul_f32_e32 v10, v15, v15
	v_sub_f32_e32 v6, v6, v9
	v_fma_f32 v9, v15, v15, -v10
	v_add_f32_e32 v16, v6, v6
	v_fmac_f32_e32 v9, v15, v16
	v_add_f32_e32 v16, v10, v9
	v_fmac_f32_e32 v11, 0x3e76c4e1, v16
	v_sub_f32_e32 v10, v16, v10
	v_mul_f32_e32 v17, v15, v16
	v_fmac_f32_e32 v12, v16, v11
	v_sub_f32_e32 v9, v9, v10
	v_fma_f32 v10, v16, v15, -v17
	v_fmac_f32_e32 v10, v16, v6
	v_mul_f32_e32 v11, v16, v12
	v_fmac_f32_e32 v10, v9, v15
	v_fma_f32 v16, v16, v12, -v11
	v_add_f32_e32 v19, v17, v10
	v_fmac_f32_e32 v16, v9, v12
	v_sub_f32_e32 v9, v19, v17
	v_add_f32_e32 v12, v11, v16
	v_sub_f32_e32 v9, v10, v9
	v_add_f32_e32 v10, 0x3f2aaaaa, v12
	v_sub_f32_e32 v11, v12, v11
	v_sub_f32_e32 v11, v16, v11
	v_add_f32_e32 v16, 0xbf2aaaaa, v10
	v_add_f32_e32 v11, 0x31739010, v11
	v_sub_f32_e32 v12, v12, v16
	v_add_f32_e32 v11, v11, v12
	v_add_f32_e32 v12, v10, v11
	s_mov_b32 s3, 0x3f317218
	v_mul_f32_e32 v13, 0x3f317218, v18
	v_sub_f32_e32 v10, v10, v12
	v_mul_f32_e32 v16, v19, v12
	v_fma_f32 v14, v18, s3, -v13
	v_add_f32_e32 v10, v11, v10
	v_fma_f32 v11, v19, v12, -v16
	v_fmac_f32_e32 v11, v19, v10
	v_fmac_f32_e32 v14, 0xb102e308, v18
	;; [unrolled: 1-line block ×3, first 2 shown]
	v_add_f32_e32 v10, v13, v14
	v_sub_f32_e32 v12, v10, v13
	v_add_f32_e32 v13, v16, v11
	s_waitcnt vmcnt(0)
	v_cvt_f32_i32_e32 v9, v5
	v_ldexp_f32 v5, v6, 1
	v_ldexp_f32 v6, v15, 1
	v_sub_f32_e32 v12, v14, v12
	v_sub_f32_e32 v14, v13, v16
	;; [unrolled: 1-line block ×3, first 2 shown]
	v_add_f32_e32 v14, v6, v13
	v_sub_f32_e32 v6, v14, v6
	v_sub_f32_e32 v6, v13, v6
	v_add_f32_e32 v5, v5, v11
	v_add_f32_e32 v5, v5, v6
	;; [unrolled: 1-line block ×3, first 2 shown]
	v_sub_f32_e32 v11, v6, v14
	v_add_f32_e32 v13, v10, v6
	v_sub_f32_e32 v5, v5, v11
	v_sub_f32_e32 v11, v13, v10
	;; [unrolled: 1-line block ×5, first 2 shown]
	v_add_f32_e32 v15, v12, v5
	v_add_f32_e32 v14, v6, v10
	v_sub_f32_e32 v6, v15, v12
	v_sub_f32_e32 v10, v15, v6
	;; [unrolled: 1-line block ×4, first 2 shown]
	v_add_f32_e32 v12, v5, v10
	v_ashrrev_i32_e32 v5, 1, v1
	v_ashrrev_i32_e32 v6, 31, v5
	v_lshlrev_b64 v[10:11], 2, v[5:6]
	v_mov_b32_e32 v6, s1
	v_add_co_u32_e32 v10, vcc, s0, v10
	v_addc_co_u32_e32 v11, vcc, v6, v11, vcc
	global_load_dword v6, v[10:11], off
	v_add_f32_e32 v10, v15, v14
	v_add_f32_e32 v11, v13, v10
	v_sub_f32_e32 v13, v11, v13
	v_sub_f32_e32 v10, v10, v13
	v_add_f32_e32 v10, v12, v10
	v_add_f32_e32 v12, v11, v10
	v_sub_f32_e32 v11, v12, v11
	v_sub_f32_e32 v10, v10, v11
	v_mul_f32_e32 v11, v8, v12
	v_fma_f32 v12, v8, v12, -v11
	v_fmac_f32_e32 v12, v8, v10
	s_movk_i32 s17, 0x204
	v_add_f32_e32 v10, v11, v12
	v_cmp_class_f32_e64 vcc, v11, s17
	v_sub_f32_e32 v13, v10, v11
	v_cndmask_b32_e32 v10, v10, v11, vcc
	s_mov_b32 s0, 0x42b17218
	v_mov_b32_e32 v11, 0x37000000
	v_cmp_eq_f32_e32 vcc, s0, v10
	v_cndmask_b32_e32 v11, 0, v11, vcc
	v_sub_f32_e32 v12, v12, v13
	v_sub_f32_e32 v13, v10, v11
	s_mov_b32 s1, 0x3fb8aa3b
	v_mul_f32_e32 v14, 0x3fb8aa3b, v13
	v_fma_f32 v15, v13, s1, -v14
	v_rndne_f32_e32 v16, v14
	v_fmac_f32_e32 v15, 0x32a5705f, v13
	v_sub_f32_e32 v14, v14, v16
	v_add_f32_e32 v14, v14, v15
	v_exp_f32_e32 v14, v14
	v_cvt_i32_f32_e32 v15, v16
	s_mov_b32 s15, 0x7f800000
	v_cmp_neq_f32_e64 vcc, |v10|, s15
	v_cndmask_b32_e32 v10, 0, v12, vcc
	s_mov_b32 s1, 0xc2ce8ed0
	v_add_f32_e32 v10, v11, v10
	v_ldexp_f32 v11, v14, v15
	v_cmp_ngt_f32_e32 vcc, s1, v13
	v_cndmask_b32_e32 v11, 0, v11, vcc
	v_mov_b32_e32 v12, 0x7f800000
	v_cmp_nlt_f32_e32 vcc, s0, v13
	v_cndmask_b32_e32 v11, v12, v11, vcc
	v_fma_f32 v10, v11, v10, v11
	v_cmp_class_f32_e64 vcc, v11, s17
	v_cndmask_b32_e32 v10, v10, v11, vcc
	v_trunc_f32_e32 v11, v8
	v_cmp_eq_f32_e32 vcc, v11, v8
	v_mul_f32_e32 v11, 0.5, v8
	v_trunc_f32_e32 v14, v11
	v_cmp_neq_f32_e64 s[0:1], v14, v11
	s_and_b64 s[0:1], vcc, s[0:1]
	v_cndmask_b32_e64 v11, 1.0, v7, s[0:1]
	s_brev_b32 s18, -2
	v_mov_b32_e32 v13, 0x7fc00000
	v_bfi_b32 v10, s18, v10, v11
	v_cmp_neq_f32_e64 s[2:3], v8, |v8|
	v_cmp_lt_f32_e64 s[6:7], |v7|, 1.0
	v_cndmask_b32_e32 v11, v13, v10, vcc
	v_cmp_gt_f32_e32 vcc, 0, v7
	s_xor_b64 s[2:3], s[2:3], s[6:7]
	v_cndmask_b32_e32 v10, v10, v11, vcc
	v_cndmask_b32_e64 v11, v12, 0, s[2:3]
	v_cmp_neq_f32_e64 vcc, |v7|, 1.0
	v_cndmask_b32_e32 v11, 1.0, v11, vcc
	v_cmp_class_f32_e64 vcc, v8, s17
	v_cndmask_b32_e32 v10, v10, v11, vcc
	v_cmp_eq_f32_e32 vcc, 0, v7
	v_cmp_gt_f32_e64 s[2:3], 0, v8
	s_xor_b64 s[2:3], s[2:3], vcc
	v_cmp_class_f32_e64 s[6:7], v7, s17
	v_cndmask_b32_e64 v8, v12, 0, s[2:3]
	v_cndmask_b32_e64 v11, 0, v7, s[0:1]
	v_bfi_b32 v8, s18, v8, v11
	s_or_b64 vcc, vcc, s[6:7]
	v_cndmask_b32_e32 v8, v10, v8, vcc
	v_cmp_o_f32_e32 vcc, v7, v7
	v_cndmask_b32_e32 v7, v13, v8, vcc
	v_mul_f32_e32 v7, v7, v9
	s_load_dwordx4 s[4:7], s[4:5], 0x40
	s_waitcnt vmcnt(0)
	v_div_scale_f32 v8, s[0:1], v6, v6, v7
	v_div_scale_f32 v9, vcc, v7, v6, v7
	s_waitcnt lgkmcnt(0)
	v_cmp_eq_f32_e64 s[0:1], s5, 0
	v_rcp_f32_e32 v10, v8
	v_fma_f32 v11, -v8, v10, 1.0
	v_fmac_f32_e32 v10, v11, v10
	v_mul_f32_e32 v11, v9, v10
	v_fma_f32 v12, -v8, v11, v9
	v_fmac_f32_e32 v11, v12, v10
	v_fma_f32 v8, -v8, v11, v9
	v_div_fmas_f32 v8, v8, v10, v11
	s_and_b64 vcc, exec, s[0:1]
	v_div_fixup_f32 v8, v8, v6, v7
	v_mul_f32_e32 v6, s4, v8
	s_cbranch_vccnz .LBB39_9
; %bb.8:
	v_cvt_f32_i32_e32 v5, v5
	v_div_scale_f32 v9, s[0:1], s4, s4, 1.0
	v_mov_b32_e32 v7, s7
	v_sub_f32_e32 v7, s16, v7
	v_subrev_f32_e32 v5, s7, v5
	v_max_f32_e32 v7, 0x3a83126f, v7
	v_div_scale_f32 v10, s[0:1], v7, v7, v5
	v_div_scale_f32 v11, s[0:1], 1.0, s4, 1.0
	v_div_scale_f32 v12, vcc, v5, v7, v5
	s_mov_b32 s2, 0x3f317217
	v_rcp_f32_e32 v13, v9
	v_fma_f32 v14, -v9, v13, 1.0
	v_fmac_f32_e32 v13, v14, v13
	v_rcp_f32_e32 v15, v10
	v_mul_f32_e32 v14, v11, v13
	v_fma_f32 v16, -v9, v14, v11
	v_fmac_f32_e32 v14, v16, v13
	v_fma_f32 v16, -v10, v15, 1.0
	v_fmac_f32_e32 v15, v16, v15
	v_fma_f32 v9, -v9, v14, v11
	v_mul_f32_e32 v11, v12, v15
	v_fma_f32 v16, -v10, v11, v12
	v_fmac_f32_e32 v11, v16, v15
	v_fma_f32 v10, -v10, v11, v12
	v_div_fmas_f32 v10, v10, v15, v11
	s_mov_b64 vcc, s[0:1]
	v_div_fmas_f32 v9, v9, v13, v14
	s_mov_b32 s0, 0x800000
	v_mov_b32_e32 v11, 0x41b17218
	v_div_fixup_f32 v5, v10, v7, v5 clamp
	v_sub_f32_e32 v5, 1.0, v5
	v_div_fixup_f32 v7, v9, s4, 1.0
	v_cmp_gt_f32_e32 vcc, s0, v7
	s_and_b64 s[0:1], vcc, exec
	s_cselect_b32 s0, 32, 0
	v_ldexp_f32 v7, v7, s0
	v_log_f32_e32 v7, v7
	v_mul_f32_e32 v9, s5, v5
	v_fma_f32 v5, -s5, v5, 1.0
	v_mul_f32_e32 v6, v5, v6
	v_mul_f32_e32 v5, 0x3f317217, v7
	v_fma_f32 v5, v7, s2, -v5
	v_fmac_f32_e32 v5, 0x3377d1cf, v7
	v_cndmask_b32_e32 v10, 0, v11, vcc
	v_fmac_f32_e32 v5, 0x3f317217, v7
	v_cmp_lt_f32_e64 vcc, |v7|, s15
	v_cndmask_b32_e32 v5, v7, v5, vcc
	v_sub_f32_e32 v5, v5, v10
	s_mov_b32 s0, 0x3dcccccd
	v_fma_f32 v5, v5, s0, 1.0
	v_fmac_f32_e32 v6, v9, v8
	v_mul_f32_e32 v7, s6, v5
	s_branch .LBB39_10
.LBB39_9:
	v_mov_b32_e32 v7, s6
.LBB39_10:
	v_and_b32_e32 v5, 0x7fffffff, v6
	s_brev_b32 s0, 18
	v_cmp_nlt_f32_e64 s[6:7], |v6|, s0
	v_lshrrev_b32_e32 v10, 23, v5
                                        ; implicit-def: $vgpr9
                                        ; implicit-def: $vgpr8
	s_and_saveexec_b64 s[0:1], s[6:7]
	s_xor_b64 s[16:17], exec, s[0:1]
	s_cbranch_execz .LBB39_12
; %bb.11:
	v_and_b32_e32 v8, 0x7fffff, v5
	v_or_b32_e32 v19, 0x800000, v8
	s_mov_b32 s0, 0xfe5163ab
	v_mad_u64_u32 v[8:9], s[0:1], v19, s0, 0
	v_mov_b32_e32 v12, 0
	s_mov_b32 s0, 0x3c439041
	v_mov_b32_e32 v11, v9
	v_mad_u64_u32 v[13:14], s[0:1], v19, s0, v[11:12]
	s_mov_b32 s0, 0xdb629599
	v_add_u32_e32 v9, 0xffffff88, v10
	v_mov_b32_e32 v11, v14
	v_mad_u64_u32 v[14:15], s[0:1], v19, s0, v[11:12]
	s_mov_b32 s0, 0xf534ddc0
	v_not_b32_e32 v18, 63
	v_mov_b32_e32 v11, v15
	v_mad_u64_u32 v[15:16], s[0:1], v19, s0, v[11:12]
	s_mov_b32 s0, 0xfc2757d1
	v_cmp_lt_u32_e32 vcc, 63, v9
	v_mov_b32_e32 v11, v16
	v_mad_u64_u32 v[16:17], s[0:1], v19, s0, v[11:12]
	v_cndmask_b32_e32 v11, 0, v18, vcc
	v_add_u32_e32 v9, v11, v9
	v_mov_b32_e32 v11, v17
	s_mov_b32 s0, 0x4e441529
	v_mad_u64_u32 v[17:18], s[0:1], v19, s0, v[11:12]
	v_not_b32_e32 v20, 31
	v_cmp_lt_u32_e64 s[0:1], 31, v9
	v_cndmask_b32_e64 v11, 0, v20, s[0:1]
	v_add_u32_e32 v9, v11, v9
	v_mov_b32_e32 v11, v18
	s_mov_b32 s2, 0xa2f9836e
	v_mad_u64_u32 v[11:12], s[2:3], v19, s2, v[11:12]
	v_cmp_lt_u32_e64 s[2:3], 31, v9
	v_cndmask_b32_e64 v18, 0, v20, s[2:3]
	v_add_u32_e32 v9, v18, v9
	v_cndmask_b32_e32 v18, v17, v15, vcc
	v_cndmask_b32_e32 v11, v11, v16, vcc
	;; [unrolled: 1-line block ×3, first 2 shown]
	v_cndmask_b32_e64 v19, v11, v18, s[0:1]
	v_cndmask_b32_e64 v11, v12, v11, s[0:1]
	v_cndmask_b32_e32 v12, v16, v14, vcc
	v_cndmask_b32_e64 v16, v18, v12, s[0:1]
	v_cndmask_b32_e64 v11, v11, v19, s[2:3]
	;; [unrolled: 1-line block ×3, first 2 shown]
	v_sub_u32_e32 v18, 32, v9
	v_alignbit_b32 v19, v11, v17, v18
	v_cmp_eq_u32_e64 s[4:5], 0, v9
	v_cndmask_b32_e64 v9, v19, v11, s[4:5]
	v_cndmask_b32_e32 v11, v15, v13, vcc
	v_cndmask_b32_e64 v12, v12, v11, s[0:1]
	v_cndmask_b32_e64 v13, v16, v12, s[2:3]
	v_alignbit_b32 v15, v17, v13, v18
	v_cndmask_b32_e32 v8, v14, v8, vcc
	v_cndmask_b32_e64 v15, v15, v17, s[4:5]
	v_bfe_u32 v19, v9, 29, 1
	v_cndmask_b32_e64 v8, v11, v8, s[0:1]
	v_alignbit_b32 v16, v9, v15, 30
	v_sub_u32_e32 v20, 0, v19
	v_cndmask_b32_e64 v8, v12, v8, s[2:3]
	v_xor_b32_e32 v16, v16, v20
	v_alignbit_b32 v11, v13, v8, v18
	v_cndmask_b32_e64 v11, v11, v13, s[4:5]
	v_ffbh_u32_e32 v13, v16
	v_alignbit_b32 v12, v15, v11, 30
	v_min_u32_e32 v13, 32, v13
	v_alignbit_b32 v8, v11, v8, 30
	v_xor_b32_e32 v12, v12, v20
	v_sub_u32_e32 v14, 31, v13
	v_xor_b32_e32 v8, v8, v20
	v_alignbit_b32 v15, v16, v12, v14
	v_alignbit_b32 v8, v12, v8, v14
	;; [unrolled: 1-line block ×3, first 2 shown]
	v_ffbh_u32_e32 v12, v11
	v_min_u32_e32 v12, 32, v12
	v_lshrrev_b32_e32 v17, 29, v9
	v_not_b32_e32 v14, v12
	v_alignbit_b32 v8, v11, v8, v14
	v_lshlrev_b32_e32 v11, 31, v17
	v_or_b32_e32 v14, 0x33000000, v11
	v_add_lshl_u32 v12, v12, v13, 23
	v_lshrrev_b32_e32 v8, 9, v8
	v_sub_u32_e32 v12, v14, v12
	v_or_b32_e32 v11, 0.5, v11
	v_lshlrev_b32_e32 v13, 23, v13
	v_or_b32_e32 v8, v12, v8
	v_lshrrev_b32_e32 v12, 9, v15
	v_sub_u32_e32 v11, v11, v13
	v_or_b32_e32 v11, v12, v11
	s_mov_b32 s0, 0x3fc90fda
	v_mul_f32_e32 v12, 0x3fc90fda, v11
	v_fma_f32 v13, v11, s0, -v12
	v_fmac_f32_e32 v13, 0x33a22168, v11
	v_fmac_f32_e32 v13, 0x3fc90fda, v8
	v_lshrrev_b32_e32 v9, 30, v9
	v_add_f32_e32 v8, v12, v13
	v_add_u32_e32 v9, v19, v9
	s_andn2_saveexec_b64 s[0:1], s[16:17]
	s_cbranch_execz .LBB39_14
	s_branch .LBB39_13
.LBB39_12:
	s_andn2_saveexec_b64 s[0:1], s[16:17]
	s_cbranch_execz .LBB39_14
.LBB39_13:
	s_mov_b32 s2, 0x3f22f983
	v_mul_f32_e64 v8, |v6|, s2
	v_rndne_f32_e32 v11, v8
	s_mov_b32 s2, 0xbfc90fda
	v_cvt_i32_f32_e32 v9, v11
	v_fma_f32 v8, v11, s2, |v6|
	v_fmac_f32_e32 v8, 0xb3a22168, v11
	v_fmac_f32_e32 v8, 0xa7c234c4, v11
.LBB39_14:
	s_or_b64 exec, exec, s[0:1]
                                        ; implicit-def: $vgpr12
                                        ; implicit-def: $vgpr11
	s_and_saveexec_b64 s[0:1], s[6:7]
	s_xor_b64 s[6:7], exec, s[0:1]
	s_cbranch_execz .LBB39_16
; %bb.15:
	v_and_b32_e32 v11, 0x7fffff, v5
	v_or_b32_e32 v20, 0x800000, v11
	s_mov_b32 s0, 0xfe5163ab
	v_mad_u64_u32 v[11:12], s[0:1], v20, s0, 0
	v_mov_b32_e32 v13, 0
	s_mov_b32 s0, 0x3c439041
	v_mad_u64_u32 v[14:15], s[0:1], v20, s0, v[12:13]
	s_mov_b32 s0, 0xdb629599
	v_add_u32_e32 v10, 0xffffff88, v10
	v_mov_b32_e32 v12, v15
	v_mad_u64_u32 v[15:16], s[0:1], v20, s0, v[12:13]
	s_mov_b32 s0, 0xf534ddc0
	v_not_b32_e32 v19, 63
	v_mov_b32_e32 v12, v16
	v_mad_u64_u32 v[16:17], s[0:1], v20, s0, v[12:13]
	s_mov_b32 s0, 0xfc2757d1
	v_cmp_lt_u32_e32 vcc, 63, v10
	v_mov_b32_e32 v12, v17
	v_mad_u64_u32 v[17:18], s[0:1], v20, s0, v[12:13]
	v_cndmask_b32_e32 v12, 0, v19, vcc
	v_add_u32_e32 v10, v12, v10
	v_mov_b32_e32 v12, v18
	s_mov_b32 s0, 0x4e441529
	v_mad_u64_u32 v[18:19], s[0:1], v20, s0, v[12:13]
	v_not_b32_e32 v21, 31
	v_cmp_lt_u32_e64 s[0:1], 31, v10
	v_cndmask_b32_e64 v12, 0, v21, s[0:1]
	v_add_u32_e32 v10, v12, v10
	v_mov_b32_e32 v12, v19
	s_mov_b32 s2, 0xa2f9836e
	v_mad_u64_u32 v[12:13], s[2:3], v20, s2, v[12:13]
	v_cmp_lt_u32_e64 s[2:3], 31, v10
	v_cndmask_b32_e64 v19, 0, v21, s[2:3]
	v_add_u32_e32 v10, v19, v10
	v_cndmask_b32_e32 v19, v18, v16, vcc
	v_cndmask_b32_e32 v12, v12, v17, vcc
	;; [unrolled: 1-line block ×3, first 2 shown]
	v_cndmask_b32_e64 v20, v12, v19, s[0:1]
	v_cndmask_b32_e64 v12, v13, v12, s[0:1]
	v_cndmask_b32_e32 v13, v17, v15, vcc
	v_cndmask_b32_e64 v17, v19, v13, s[0:1]
	v_cndmask_b32_e64 v12, v12, v20, s[2:3]
	;; [unrolled: 1-line block ×3, first 2 shown]
	v_sub_u32_e32 v19, 32, v10
	v_alignbit_b32 v20, v12, v18, v19
	v_cmp_eq_u32_e64 s[4:5], 0, v10
	v_cndmask_b32_e64 v10, v20, v12, s[4:5]
	v_cndmask_b32_e32 v12, v16, v14, vcc
	v_cndmask_b32_e64 v13, v13, v12, s[0:1]
	v_cndmask_b32_e64 v14, v17, v13, s[2:3]
	v_alignbit_b32 v16, v18, v14, v19
	v_cndmask_b32_e32 v11, v15, v11, vcc
	v_cndmask_b32_e64 v16, v16, v18, s[4:5]
	v_bfe_u32 v20, v10, 29, 1
	v_cndmask_b32_e64 v11, v12, v11, s[0:1]
	v_alignbit_b32 v17, v10, v16, 30
	v_sub_u32_e32 v21, 0, v20
	v_cndmask_b32_e64 v11, v13, v11, s[2:3]
	v_xor_b32_e32 v17, v17, v21
	v_alignbit_b32 v12, v14, v11, v19
	v_cndmask_b32_e64 v12, v12, v14, s[4:5]
	v_ffbh_u32_e32 v14, v17
	v_alignbit_b32 v13, v16, v12, 30
	v_min_u32_e32 v14, 32, v14
	v_alignbit_b32 v11, v12, v11, 30
	v_xor_b32_e32 v13, v13, v21
	v_sub_u32_e32 v15, 31, v14
	v_xor_b32_e32 v11, v11, v21
	v_alignbit_b32 v16, v17, v13, v15
	v_alignbit_b32 v11, v13, v11, v15
	;; [unrolled: 1-line block ×3, first 2 shown]
	v_ffbh_u32_e32 v13, v12
	v_min_u32_e32 v13, 32, v13
	v_lshrrev_b32_e32 v18, 29, v10
	v_not_b32_e32 v15, v13
	v_alignbit_b32 v11, v12, v11, v15
	v_lshlrev_b32_e32 v12, 31, v18
	v_or_b32_e32 v15, 0x33000000, v12
	v_add_lshl_u32 v13, v13, v14, 23
	v_lshrrev_b32_e32 v11, 9, v11
	v_sub_u32_e32 v13, v15, v13
	v_or_b32_e32 v12, 0.5, v12
	v_lshlrev_b32_e32 v14, 23, v14
	v_or_b32_e32 v11, v13, v11
	v_lshrrev_b32_e32 v13, 9, v16
	v_sub_u32_e32 v12, v12, v14
	v_or_b32_e32 v12, v13, v12
	s_mov_b32 s0, 0x3fc90fda
	v_mul_f32_e32 v13, 0x3fc90fda, v12
	v_fma_f32 v14, v12, s0, -v13
	v_fmac_f32_e32 v14, 0x33a22168, v12
	v_fmac_f32_e32 v14, 0x3fc90fda, v11
	v_lshrrev_b32_e32 v10, 30, v10
	v_add_f32_e32 v11, v13, v14
	v_add_u32_e32 v12, v20, v10
	s_andn2_saveexec_b64 s[0:1], s[6:7]
	s_cbranch_execnz .LBB39_17
	s_branch .LBB39_18
.LBB39_16:
	s_andn2_saveexec_b64 s[0:1], s[6:7]
	s_cbranch_execz .LBB39_18
.LBB39_17:
	s_mov_b32 s2, 0x3f22f983
	v_mul_f32_e64 v10, |v6|, s2
	v_rndne_f32_e32 v10, v10
	s_mov_b32 s2, 0xbfc90fda
	v_cvt_i32_f32_e32 v12, v10
	v_fma_f32 v11, v10, s2, |v6|
	v_fmac_f32_e32 v11, 0xb3a22168, v10
	v_fmac_f32_e32 v11, 0xa7c234c4, v10
.LBB39_18:
	s_or_b64 exec, exec, s[0:1]
	v_lshlrev_b64 v[3:4], 1, v[3:4]
	v_mov_b32_e32 v10, s9
	v_add_co_u32_e32 v3, vcc, s8, v3
	v_addc_co_u32_e32 v4, vcc, v10, v4, vcc
	global_load_dword v3, v[3:4], off
	v_mul_f32_e32 v4, v8, v8
	v_mov_b32_e32 v13, 0x3c0881c4
	v_mov_b32_e32 v16, 0xbab64f3b
	;; [unrolled: 1-line block ×6, first 2 shown]
	v_mul_f32_e32 v21, v11, v11
	v_and_b32_e32 v22, 1, v12
	v_lshlrev_b32_e32 v12, 30, v12
	v_fmac_f32_e32 v13, 0xb94c1982, v4
	v_fmac_f32_e32 v16, 0x37d75334, v4
	v_mov_b32_e32 v18, 0xbf000004
	v_xor_b32_e32 v5, v5, v6
	v_fmac_f32_e32 v10, 0xb94c1982, v21
	v_fmac_f32_e32 v15, 0x37d75334, v21
	v_and_b32_e32 v12, 0x80000000, v12
	v_fma_f32 v13, v4, v13, v14
	v_fma_f32 v16, v4, v16, v17
	v_and_b32_e32 v19, 1, v9
	v_fmac_f32_e32 v14, v21, v10
	v_fmac_f32_e32 v17, v21, v15
	v_xor_b32_e32 v5, v5, v12
	v_mul_f32_e32 v10, v4, v13
	v_fma_f32 v12, v4, v16, v18
	v_mul_f32_e32 v13, v21, v14
	v_fmac_f32_e32 v18, v21, v17
	v_fmac_f32_e32 v8, v8, v10
	v_fma_f32 v4, v4, v12, 1.0
	v_cmp_eq_u32_e32 vcc, 0, v19
	v_fmac_f32_e32 v11, v11, v13
	v_fma_f32 v10, v21, v18, 1.0
	v_cndmask_b32_e64 v4, -v8, v4, vcc
	v_cmp_eq_u32_e32 vcc, 0, v22
	s_movk_i32 s0, 0x1f8
	v_cndmask_b32_e32 v8, v10, v11, vcc
	v_lshlrev_b32_e32 v9, 30, v9
	v_xor_b32_e32 v5, v5, v8
	v_cmp_class_f32_e64 vcc, v6, s0
	v_mov_b32_e32 v20, 0x7fc00000
	v_and_b32_e32 v9, 0x80000000, v9
	v_xor_b32_e32 v4, v9, v4
	v_cndmask_b32_e32 v5, v20, v5, vcc
	v_cndmask_b32_e32 v4, v20, v4, vcc
	v_mul_f32_e64 v5, v5, -v7
	v_mul_f32_e32 v4, v7, v4
	s_waitcnt vmcnt(0)
	v_cvt_f32_f16_sdwa v6, v3 dst_sel:DWORD dst_unused:UNUSED_PAD src0_sel:WORD_1
	v_cvt_f32_f16_e32 v8, v3
	v_mul_f32_e32 v6, v5, v6
	v_mul_f32_e32 v5, v5, v8
	v_fma_mixlo_f16 v6, v4, v3, -v6 op_sel_hi:[0,1,0]
	v_fma_mixlo_f16 v3, v4, v3, v5 op_sel:[0,1,0] op_sel_hi:[0,1,0]
	v_lshlrev_b32_e32 v3, 16, v3
	v_or_b32_sdwa v6, v3, v6 dst_sel:DWORD dst_unused:UNUSED_PAD src0_sel:DWORD src1_sel:WORD_0
.LBB39_19:
	s_or_b64 exec, exec, s[12:13]
	v_mul_lo_u32 v0, v0, s14
	s_waitcnt lgkmcnt(0)
	v_mov_b32_e32 v3, s11
	v_add3_u32 v0, v0, v1, v2
	v_ashrrev_i32_e32 v1, 31, v0
	v_lshlrev_b64 v[0:1], 1, v[0:1]
	v_add_co_u32_e32 v0, vcc, s10, v0
	v_addc_co_u32_e32 v1, vcc, v3, v1, vcc
	s_waitcnt vmcnt(0)
	global_store_dword v[0:1], v6, off
.LBB39_20:
	s_endpgm
	.section	.rodata,"a",@progbits
	.p2align	6, 0x0
	.amdhsa_kernel _ZL9rope_normILb0ELb1E6__halfS0_EvPKT1_PT2_iiiiiiiiiiPKifff14rope_corr_dimsfPKfPKli
		.amdhsa_group_segment_fixed_size 0
		.amdhsa_private_segment_fixed_size 0
		.amdhsa_kernarg_size 368
		.amdhsa_user_sgpr_count 6
		.amdhsa_user_sgpr_private_segment_buffer 1
		.amdhsa_user_sgpr_dispatch_ptr 0
		.amdhsa_user_sgpr_queue_ptr 0
		.amdhsa_user_sgpr_kernarg_segment_ptr 1
		.amdhsa_user_sgpr_dispatch_id 0
		.amdhsa_user_sgpr_flat_scratch_init 0
		.amdhsa_user_sgpr_private_segment_size 0
		.amdhsa_uses_dynamic_stack 0
		.amdhsa_system_sgpr_private_segment_wavefront_offset 0
		.amdhsa_system_sgpr_workgroup_id_x 1
		.amdhsa_system_sgpr_workgroup_id_y 1
		.amdhsa_system_sgpr_workgroup_id_z 0
		.amdhsa_system_sgpr_workgroup_info 0
		.amdhsa_system_vgpr_workitem_id 1
		.amdhsa_next_free_vgpr 23
		.amdhsa_next_free_sgpr 19
		.amdhsa_reserve_vcc 1
		.amdhsa_reserve_flat_scratch 0
		.amdhsa_float_round_mode_32 0
		.amdhsa_float_round_mode_16_64 0
		.amdhsa_float_denorm_mode_32 3
		.amdhsa_float_denorm_mode_16_64 3
		.amdhsa_dx10_clamp 1
		.amdhsa_ieee_mode 1
		.amdhsa_fp16_overflow 0
		.amdhsa_exception_fp_ieee_invalid_op 0
		.amdhsa_exception_fp_denorm_src 0
		.amdhsa_exception_fp_ieee_div_zero 0
		.amdhsa_exception_fp_ieee_overflow 0
		.amdhsa_exception_fp_ieee_underflow 0
		.amdhsa_exception_fp_ieee_inexact 0
		.amdhsa_exception_int_div_zero 0
	.end_amdhsa_kernel
	.section	.text._ZL9rope_normILb0ELb1E6__halfS0_EvPKT1_PT2_iiiiiiiiiiPKifff14rope_corr_dimsfPKfPKli,"axG",@progbits,_ZL9rope_normILb0ELb1E6__halfS0_EvPKT1_PT2_iiiiiiiiiiPKifff14rope_corr_dimsfPKfPKli,comdat
.Lfunc_end39:
	.size	_ZL9rope_normILb0ELb1E6__halfS0_EvPKT1_PT2_iiiiiiiiiiPKifff14rope_corr_dimsfPKfPKli, .Lfunc_end39-_ZL9rope_normILb0ELb1E6__halfS0_EvPKT1_PT2_iiiiiiiiiiPKifff14rope_corr_dimsfPKfPKli
                                        ; -- End function
	.set _ZL9rope_normILb0ELb1E6__halfS0_EvPKT1_PT2_iiiiiiiiiiPKifff14rope_corr_dimsfPKfPKli.num_vgpr, 23
	.set _ZL9rope_normILb0ELb1E6__halfS0_EvPKT1_PT2_iiiiiiiiiiPKifff14rope_corr_dimsfPKfPKli.num_agpr, 0
	.set _ZL9rope_normILb0ELb1E6__halfS0_EvPKT1_PT2_iiiiiiiiiiPKifff14rope_corr_dimsfPKfPKli.numbered_sgpr, 19
	.set _ZL9rope_normILb0ELb1E6__halfS0_EvPKT1_PT2_iiiiiiiiiiPKifff14rope_corr_dimsfPKfPKli.num_named_barrier, 0
	.set _ZL9rope_normILb0ELb1E6__halfS0_EvPKT1_PT2_iiiiiiiiiiPKifff14rope_corr_dimsfPKfPKli.private_seg_size, 0
	.set _ZL9rope_normILb0ELb1E6__halfS0_EvPKT1_PT2_iiiiiiiiiiPKifff14rope_corr_dimsfPKfPKli.uses_vcc, 1
	.set _ZL9rope_normILb0ELb1E6__halfS0_EvPKT1_PT2_iiiiiiiiiiPKifff14rope_corr_dimsfPKfPKli.uses_flat_scratch, 0
	.set _ZL9rope_normILb0ELb1E6__halfS0_EvPKT1_PT2_iiiiiiiiiiPKifff14rope_corr_dimsfPKfPKli.has_dyn_sized_stack, 0
	.set _ZL9rope_normILb0ELb1E6__halfS0_EvPKT1_PT2_iiiiiiiiiiPKifff14rope_corr_dimsfPKfPKli.has_recursion, 0
	.set _ZL9rope_normILb0ELb1E6__halfS0_EvPKT1_PT2_iiiiiiiiiiPKifff14rope_corr_dimsfPKfPKli.has_indirect_call, 0
	.section	.AMDGPU.csdata,"",@progbits
; Kernel info:
; codeLenInByte = 3812
; TotalNumSgprs: 23
; NumVgprs: 23
; ScratchSize: 0
; MemoryBound: 0
; FloatMode: 240
; IeeeMode: 1
; LDSByteSize: 0 bytes/workgroup (compile time only)
; SGPRBlocks: 2
; VGPRBlocks: 5
; NumSGPRsForWavesPerEU: 23
; NumVGPRsForWavesPerEU: 23
; Occupancy: 10
; WaveLimiterHint : 0
; COMPUTE_PGM_RSRC2:SCRATCH_EN: 0
; COMPUTE_PGM_RSRC2:USER_SGPR: 6
; COMPUTE_PGM_RSRC2:TRAP_HANDLER: 0
; COMPUTE_PGM_RSRC2:TGID_X_EN: 1
; COMPUTE_PGM_RSRC2:TGID_Y_EN: 1
; COMPUTE_PGM_RSRC2:TGID_Z_EN: 0
; COMPUTE_PGM_RSRC2:TIDIG_COMP_CNT: 1
	.section	.AMDGPU.gpr_maximums,"",@progbits
	.set amdgpu.max_num_vgpr, 0
	.set amdgpu.max_num_agpr, 0
	.set amdgpu.max_num_sgpr, 0
	.section	.AMDGPU.csdata,"",@progbits
	.type	__hip_cuid_dfb3794431c97165,@object ; @__hip_cuid_dfb3794431c97165
	.section	.bss,"aw",@nobits
	.globl	__hip_cuid_dfb3794431c97165
__hip_cuid_dfb3794431c97165:
	.byte	0                               ; 0x0
	.size	__hip_cuid_dfb3794431c97165, 1

	.ident	"AMD clang version 22.0.0git (https://github.com/RadeonOpenCompute/llvm-project roc-7.2.4 26084 f58b06dce1f9c15707c5f808fd002e18c2accf7e)"
	.section	".note.GNU-stack","",@progbits
	.addrsig
	.addrsig_sym __hip_cuid_dfb3794431c97165
	.amdgpu_metadata
---
amdhsa.kernels:
  - .args:
      - .address_space:  global
        .offset:         0
        .size:           8
        .value_kind:     global_buffer
      - .address_space:  global
        .offset:         8
        .size:           8
        .value_kind:     global_buffer
      - .offset:         16
        .size:           4
        .value_kind:     by_value
      - .offset:         20
        .size:           4
        .value_kind:     by_value
      - .offset:         24
        .size:           4
        .value_kind:     by_value
      - .offset:         28
        .size:           4
        .value_kind:     by_value
      - .offset:         32
        .size:           4
        .value_kind:     by_value
      - .offset:         36
        .size:           4
        .value_kind:     by_value
      - .offset:         40
        .size:           4
        .value_kind:     by_value
      - .offset:         44
        .size:           4
        .value_kind:     by_value
      - .offset:         48
        .size:           4
        .value_kind:     by_value
      - .offset:         52
        .size:           4
        .value_kind:     by_value
      - .address_space:  global
        .offset:         56
        .size:           8
        .value_kind:     global_buffer
      - .offset:         64
        .size:           4
        .value_kind:     by_value
      - .offset:         68
        .size:           4
        .value_kind:     by_value
      - .offset:         72
        .size:           4
        .value_kind:     by_value
      - .offset:         76
        .size:           8
        .value_kind:     by_value
      - .offset:         84
        .size:           4
        .value_kind:     by_value
      - .address_space:  global
        .offset:         88
        .size:           8
        .value_kind:     global_buffer
      - .address_space:  global
        .offset:         96
        .size:           8
        .value_kind:     global_buffer
      - .offset:         104
        .size:           4
        .value_kind:     by_value
      - .offset:         112
        .size:           4
        .value_kind:     hidden_block_count_x
      - .offset:         116
        .size:           4
        .value_kind:     hidden_block_count_y
      - .offset:         120
        .size:           4
        .value_kind:     hidden_block_count_z
      - .offset:         124
        .size:           2
        .value_kind:     hidden_group_size_x
      - .offset:         126
        .size:           2
        .value_kind:     hidden_group_size_y
      - .offset:         128
        .size:           2
        .value_kind:     hidden_group_size_z
      - .offset:         130
        .size:           2
        .value_kind:     hidden_remainder_x
      - .offset:         132
        .size:           2
        .value_kind:     hidden_remainder_y
      - .offset:         134
        .size:           2
        .value_kind:     hidden_remainder_z
      - .offset:         152
        .size:           8
        .value_kind:     hidden_global_offset_x
      - .offset:         160
        .size:           8
        .value_kind:     hidden_global_offset_y
      - .offset:         168
        .size:           8
        .value_kind:     hidden_global_offset_z
      - .offset:         176
        .size:           2
        .value_kind:     hidden_grid_dims
    .group_segment_fixed_size: 0
    .kernarg_segment_align: 8
    .kernarg_segment_size: 368
    .language:       OpenCL C
    .language_version:
      - 2
      - 0
    .max_flat_workgroup_size: 1024
    .name:           _ZL9rope_neoxILb1ELb0EffEvPKT1_PT2_iiiiiiiiiiPKifff14rope_corr_dimsfPKfPKli
    .private_segment_fixed_size: 0
    .sgpr_count:     24
    .sgpr_spill_count: 0
    .symbol:         _ZL9rope_neoxILb1ELb0EffEvPKT1_PT2_iiiiiiiiiiPKifff14rope_corr_dimsfPKfPKli.kd
    .uniform_work_group_size: 1
    .uses_dynamic_stack: false
    .vgpr_count:     20
    .vgpr_spill_count: 0
    .wavefront_size: 64
  - .args:
      - .address_space:  global
        .offset:         0
        .size:           8
        .value_kind:     global_buffer
      - .address_space:  global
        .offset:         8
        .size:           8
        .value_kind:     global_buffer
      - .offset:         16
        .size:           4
        .value_kind:     by_value
      - .offset:         20
        .size:           4
        .value_kind:     by_value
      - .offset:         24
        .size:           4
        .value_kind:     by_value
      - .offset:         28
        .size:           4
        .value_kind:     by_value
      - .offset:         32
        .size:           4
        .value_kind:     by_value
      - .offset:         36
        .size:           4
        .value_kind:     by_value
      - .offset:         40
        .size:           4
        .value_kind:     by_value
      - .offset:         44
        .size:           4
        .value_kind:     by_value
      - .offset:         48
        .size:           4
        .value_kind:     by_value
      - .offset:         52
        .size:           4
        .value_kind:     by_value
      - .address_space:  global
        .offset:         56
        .size:           8
        .value_kind:     global_buffer
      - .offset:         64
        .size:           4
        .value_kind:     by_value
      - .offset:         68
        .size:           4
        .value_kind:     by_value
      - .offset:         72
        .size:           4
        .value_kind:     by_value
      - .offset:         76
        .size:           8
        .value_kind:     by_value
      - .offset:         84
        .size:           4
        .value_kind:     by_value
      - .address_space:  global
        .offset:         88
        .size:           8
        .value_kind:     global_buffer
      - .address_space:  global
        .offset:         96
        .size:           8
        .value_kind:     global_buffer
      - .offset:         104
        .size:           4
        .value_kind:     by_value
      - .offset:         112
        .size:           4
        .value_kind:     hidden_block_count_x
      - .offset:         116
        .size:           4
        .value_kind:     hidden_block_count_y
      - .offset:         120
        .size:           4
        .value_kind:     hidden_block_count_z
      - .offset:         124
        .size:           2
        .value_kind:     hidden_group_size_x
      - .offset:         126
        .size:           2
        .value_kind:     hidden_group_size_y
      - .offset:         128
        .size:           2
        .value_kind:     hidden_group_size_z
      - .offset:         130
        .size:           2
        .value_kind:     hidden_remainder_x
      - .offset:         132
        .size:           2
        .value_kind:     hidden_remainder_y
      - .offset:         134
        .size:           2
        .value_kind:     hidden_remainder_z
      - .offset:         152
        .size:           8
        .value_kind:     hidden_global_offset_x
      - .offset:         160
        .size:           8
        .value_kind:     hidden_global_offset_y
      - .offset:         168
        .size:           8
        .value_kind:     hidden_global_offset_z
      - .offset:         176
        .size:           2
        .value_kind:     hidden_grid_dims
    .group_segment_fixed_size: 0
    .kernarg_segment_align: 8
    .kernarg_segment_size: 368
    .language:       OpenCL C
    .language_version:
      - 2
      - 0
    .max_flat_workgroup_size: 1024
    .name:           _ZL9rope_neoxILb1ELb1EffEvPKT1_PT2_iiiiiiiiiiPKifff14rope_corr_dimsfPKfPKli
    .private_segment_fixed_size: 0
    .sgpr_count:     22
    .sgpr_spill_count: 0
    .symbol:         _ZL9rope_neoxILb1ELb1EffEvPKT1_PT2_iiiiiiiiiiPKifff14rope_corr_dimsfPKfPKli.kd
    .uniform_work_group_size: 1
    .uses_dynamic_stack: false
    .vgpr_count:     20
    .vgpr_spill_count: 0
    .wavefront_size: 64
  - .args:
      - .address_space:  global
        .offset:         0
        .size:           8
        .value_kind:     global_buffer
      - .address_space:  global
        .offset:         8
        .size:           8
        .value_kind:     global_buffer
      - .offset:         16
        .size:           4
        .value_kind:     by_value
      - .offset:         20
        .size:           4
        .value_kind:     by_value
      - .offset:         24
        .size:           4
        .value_kind:     by_value
      - .offset:         28
        .size:           4
        .value_kind:     by_value
      - .offset:         32
        .size:           4
        .value_kind:     by_value
      - .offset:         36
        .size:           4
        .value_kind:     by_value
      - .offset:         40
        .size:           4
        .value_kind:     by_value
      - .offset:         44
        .size:           4
        .value_kind:     by_value
      - .offset:         48
        .size:           4
        .value_kind:     by_value
      - .offset:         52
        .size:           4
        .value_kind:     by_value
      - .address_space:  global
        .offset:         56
        .size:           8
        .value_kind:     global_buffer
      - .offset:         64
        .size:           4
        .value_kind:     by_value
      - .offset:         68
        .size:           4
        .value_kind:     by_value
      - .offset:         72
        .size:           4
        .value_kind:     by_value
      - .offset:         76
        .size:           8
        .value_kind:     by_value
      - .offset:         84
        .size:           4
        .value_kind:     by_value
      - .address_space:  global
        .offset:         88
        .size:           8
        .value_kind:     global_buffer
      - .address_space:  global
        .offset:         96
        .size:           8
        .value_kind:     global_buffer
      - .offset:         104
        .size:           4
        .value_kind:     by_value
      - .offset:         112
        .size:           4
        .value_kind:     hidden_block_count_x
      - .offset:         116
        .size:           4
        .value_kind:     hidden_block_count_y
      - .offset:         120
        .size:           4
        .value_kind:     hidden_block_count_z
      - .offset:         124
        .size:           2
        .value_kind:     hidden_group_size_x
      - .offset:         126
        .size:           2
        .value_kind:     hidden_group_size_y
      - .offset:         128
        .size:           2
        .value_kind:     hidden_group_size_z
      - .offset:         130
        .size:           2
        .value_kind:     hidden_remainder_x
      - .offset:         132
        .size:           2
        .value_kind:     hidden_remainder_y
      - .offset:         134
        .size:           2
        .value_kind:     hidden_remainder_z
      - .offset:         152
        .size:           8
        .value_kind:     hidden_global_offset_x
      - .offset:         160
        .size:           8
        .value_kind:     hidden_global_offset_y
      - .offset:         168
        .size:           8
        .value_kind:     hidden_global_offset_z
      - .offset:         176
        .size:           2
        .value_kind:     hidden_grid_dims
    .group_segment_fixed_size: 0
    .kernarg_segment_align: 8
    .kernarg_segment_size: 368
    .language:       OpenCL C
    .language_version:
      - 2
      - 0
    .max_flat_workgroup_size: 1024
    .name:           _ZL9rope_neoxILb1ELb0Ef6__halfEvPKT1_PT2_iiiiiiiiiiPKifff14rope_corr_dimsfPKfPKli
    .private_segment_fixed_size: 0
    .sgpr_count:     24
    .sgpr_spill_count: 0
    .symbol:         _ZL9rope_neoxILb1ELb0Ef6__halfEvPKT1_PT2_iiiiiiiiiiPKifff14rope_corr_dimsfPKfPKli.kd
    .uniform_work_group_size: 1
    .uses_dynamic_stack: false
    .vgpr_count:     20
    .vgpr_spill_count: 0
    .wavefront_size: 64
  - .args:
      - .address_space:  global
        .offset:         0
        .size:           8
        .value_kind:     global_buffer
      - .address_space:  global
        .offset:         8
        .size:           8
        .value_kind:     global_buffer
      - .offset:         16
        .size:           4
        .value_kind:     by_value
      - .offset:         20
        .size:           4
        .value_kind:     by_value
      - .offset:         24
        .size:           4
        .value_kind:     by_value
      - .offset:         28
        .size:           4
        .value_kind:     by_value
      - .offset:         32
        .size:           4
        .value_kind:     by_value
      - .offset:         36
        .size:           4
        .value_kind:     by_value
      - .offset:         40
        .size:           4
        .value_kind:     by_value
      - .offset:         44
        .size:           4
        .value_kind:     by_value
      - .offset:         48
        .size:           4
        .value_kind:     by_value
      - .offset:         52
        .size:           4
        .value_kind:     by_value
      - .address_space:  global
        .offset:         56
        .size:           8
        .value_kind:     global_buffer
      - .offset:         64
        .size:           4
        .value_kind:     by_value
      - .offset:         68
        .size:           4
        .value_kind:     by_value
      - .offset:         72
        .size:           4
        .value_kind:     by_value
      - .offset:         76
        .size:           8
        .value_kind:     by_value
      - .offset:         84
        .size:           4
        .value_kind:     by_value
      - .address_space:  global
        .offset:         88
        .size:           8
        .value_kind:     global_buffer
      - .address_space:  global
        .offset:         96
        .size:           8
        .value_kind:     global_buffer
      - .offset:         104
        .size:           4
        .value_kind:     by_value
      - .offset:         112
        .size:           4
        .value_kind:     hidden_block_count_x
      - .offset:         116
        .size:           4
        .value_kind:     hidden_block_count_y
      - .offset:         120
        .size:           4
        .value_kind:     hidden_block_count_z
      - .offset:         124
        .size:           2
        .value_kind:     hidden_group_size_x
      - .offset:         126
        .size:           2
        .value_kind:     hidden_group_size_y
      - .offset:         128
        .size:           2
        .value_kind:     hidden_group_size_z
      - .offset:         130
        .size:           2
        .value_kind:     hidden_remainder_x
      - .offset:         132
        .size:           2
        .value_kind:     hidden_remainder_y
      - .offset:         134
        .size:           2
        .value_kind:     hidden_remainder_z
      - .offset:         152
        .size:           8
        .value_kind:     hidden_global_offset_x
      - .offset:         160
        .size:           8
        .value_kind:     hidden_global_offset_y
      - .offset:         168
        .size:           8
        .value_kind:     hidden_global_offset_z
      - .offset:         176
        .size:           2
        .value_kind:     hidden_grid_dims
    .group_segment_fixed_size: 0
    .kernarg_segment_align: 8
    .kernarg_segment_size: 368
    .language:       OpenCL C
    .language_version:
      - 2
      - 0
    .max_flat_workgroup_size: 1024
    .name:           _ZL9rope_neoxILb1ELb1Ef6__halfEvPKT1_PT2_iiiiiiiiiiPKifff14rope_corr_dimsfPKfPKli
    .private_segment_fixed_size: 0
    .sgpr_count:     22
    .sgpr_spill_count: 0
    .symbol:         _ZL9rope_neoxILb1ELb1Ef6__halfEvPKT1_PT2_iiiiiiiiiiPKifff14rope_corr_dimsfPKfPKli.kd
    .uniform_work_group_size: 1
    .uses_dynamic_stack: false
    .vgpr_count:     20
    .vgpr_spill_count: 0
    .wavefront_size: 64
  - .args:
      - .address_space:  global
        .offset:         0
        .size:           8
        .value_kind:     global_buffer
      - .address_space:  global
        .offset:         8
        .size:           8
        .value_kind:     global_buffer
      - .offset:         16
        .size:           4
        .value_kind:     by_value
      - .offset:         20
        .size:           4
        .value_kind:     by_value
      - .offset:         24
        .size:           4
        .value_kind:     by_value
      - .offset:         28
        .size:           4
        .value_kind:     by_value
      - .offset:         32
        .size:           4
        .value_kind:     by_value
      - .offset:         36
        .size:           4
        .value_kind:     by_value
      - .offset:         40
        .size:           4
        .value_kind:     by_value
      - .offset:         44
        .size:           4
        .value_kind:     by_value
      - .offset:         48
        .size:           4
        .value_kind:     by_value
      - .offset:         52
        .size:           4
        .value_kind:     by_value
      - .address_space:  global
        .offset:         56
        .size:           8
        .value_kind:     global_buffer
      - .offset:         64
        .size:           4
        .value_kind:     by_value
      - .offset:         68
        .size:           4
        .value_kind:     by_value
      - .offset:         72
        .size:           4
        .value_kind:     by_value
      - .offset:         76
        .size:           8
        .value_kind:     by_value
      - .offset:         84
        .size:           4
        .value_kind:     by_value
      - .address_space:  global
        .offset:         88
        .size:           8
        .value_kind:     global_buffer
      - .address_space:  global
        .offset:         96
        .size:           8
        .value_kind:     global_buffer
      - .offset:         104
        .size:           4
        .value_kind:     by_value
      - .offset:         112
        .size:           4
        .value_kind:     hidden_block_count_x
      - .offset:         116
        .size:           4
        .value_kind:     hidden_block_count_y
      - .offset:         120
        .size:           4
        .value_kind:     hidden_block_count_z
      - .offset:         124
        .size:           2
        .value_kind:     hidden_group_size_x
      - .offset:         126
        .size:           2
        .value_kind:     hidden_group_size_y
      - .offset:         128
        .size:           2
        .value_kind:     hidden_group_size_z
      - .offset:         130
        .size:           2
        .value_kind:     hidden_remainder_x
      - .offset:         132
        .size:           2
        .value_kind:     hidden_remainder_y
      - .offset:         134
        .size:           2
        .value_kind:     hidden_remainder_z
      - .offset:         152
        .size:           8
        .value_kind:     hidden_global_offset_x
      - .offset:         160
        .size:           8
        .value_kind:     hidden_global_offset_y
      - .offset:         168
        .size:           8
        .value_kind:     hidden_global_offset_z
      - .offset:         176
        .size:           2
        .value_kind:     hidden_grid_dims
    .group_segment_fixed_size: 0
    .kernarg_segment_align: 8
    .kernarg_segment_size: 368
    .language:       OpenCL C
    .language_version:
      - 2
      - 0
    .max_flat_workgroup_size: 1024
    .name:           _ZL9rope_neoxILb1ELb0E6__halfS0_EvPKT1_PT2_iiiiiiiiiiPKifff14rope_corr_dimsfPKfPKli
    .private_segment_fixed_size: 0
    .sgpr_count:     24
    .sgpr_spill_count: 0
    .symbol:         _ZL9rope_neoxILb1ELb0E6__halfS0_EvPKT1_PT2_iiiiiiiiiiPKifff14rope_corr_dimsfPKfPKli.kd
    .uniform_work_group_size: 1
    .uses_dynamic_stack: false
    .vgpr_count:     20
    .vgpr_spill_count: 0
    .wavefront_size: 64
  - .args:
      - .address_space:  global
        .offset:         0
        .size:           8
        .value_kind:     global_buffer
      - .address_space:  global
        .offset:         8
        .size:           8
        .value_kind:     global_buffer
      - .offset:         16
        .size:           4
        .value_kind:     by_value
      - .offset:         20
        .size:           4
        .value_kind:     by_value
      - .offset:         24
        .size:           4
        .value_kind:     by_value
      - .offset:         28
        .size:           4
        .value_kind:     by_value
      - .offset:         32
        .size:           4
        .value_kind:     by_value
      - .offset:         36
        .size:           4
        .value_kind:     by_value
      - .offset:         40
        .size:           4
        .value_kind:     by_value
      - .offset:         44
        .size:           4
        .value_kind:     by_value
      - .offset:         48
        .size:           4
        .value_kind:     by_value
      - .offset:         52
        .size:           4
        .value_kind:     by_value
      - .address_space:  global
        .offset:         56
        .size:           8
        .value_kind:     global_buffer
      - .offset:         64
        .size:           4
        .value_kind:     by_value
      - .offset:         68
        .size:           4
        .value_kind:     by_value
      - .offset:         72
        .size:           4
        .value_kind:     by_value
      - .offset:         76
        .size:           8
        .value_kind:     by_value
      - .offset:         84
        .size:           4
        .value_kind:     by_value
      - .address_space:  global
        .offset:         88
        .size:           8
        .value_kind:     global_buffer
      - .address_space:  global
        .offset:         96
        .size:           8
        .value_kind:     global_buffer
      - .offset:         104
        .size:           4
        .value_kind:     by_value
      - .offset:         112
        .size:           4
        .value_kind:     hidden_block_count_x
      - .offset:         116
        .size:           4
        .value_kind:     hidden_block_count_y
      - .offset:         120
        .size:           4
        .value_kind:     hidden_block_count_z
      - .offset:         124
        .size:           2
        .value_kind:     hidden_group_size_x
      - .offset:         126
        .size:           2
        .value_kind:     hidden_group_size_y
      - .offset:         128
        .size:           2
        .value_kind:     hidden_group_size_z
      - .offset:         130
        .size:           2
        .value_kind:     hidden_remainder_x
      - .offset:         132
        .size:           2
        .value_kind:     hidden_remainder_y
      - .offset:         134
        .size:           2
        .value_kind:     hidden_remainder_z
      - .offset:         152
        .size:           8
        .value_kind:     hidden_global_offset_x
      - .offset:         160
        .size:           8
        .value_kind:     hidden_global_offset_y
      - .offset:         168
        .size:           8
        .value_kind:     hidden_global_offset_z
      - .offset:         176
        .size:           2
        .value_kind:     hidden_grid_dims
    .group_segment_fixed_size: 0
    .kernarg_segment_align: 8
    .kernarg_segment_size: 368
    .language:       OpenCL C
    .language_version:
      - 2
      - 0
    .max_flat_workgroup_size: 1024
    .name:           _ZL9rope_neoxILb1ELb1E6__halfS0_EvPKT1_PT2_iiiiiiiiiiPKifff14rope_corr_dimsfPKfPKli
    .private_segment_fixed_size: 0
    .sgpr_count:     22
    .sgpr_spill_count: 0
    .symbol:         _ZL9rope_neoxILb1ELb1E6__halfS0_EvPKT1_PT2_iiiiiiiiiiPKifff14rope_corr_dimsfPKfPKli.kd
    .uniform_work_group_size: 1
    .uses_dynamic_stack: false
    .vgpr_count:     20
    .vgpr_spill_count: 0
    .wavefront_size: 64
  - .args:
      - .address_space:  global
        .offset:         0
        .size:           8
        .value_kind:     global_buffer
      - .address_space:  global
        .offset:         8
        .size:           8
        .value_kind:     global_buffer
      - .offset:         16
        .size:           4
        .value_kind:     by_value
      - .offset:         20
        .size:           4
        .value_kind:     by_value
      - .offset:         24
        .size:           4
        .value_kind:     by_value
      - .offset:         28
        .size:           4
        .value_kind:     by_value
      - .offset:         32
        .size:           4
        .value_kind:     by_value
      - .offset:         36
        .size:           4
        .value_kind:     by_value
      - .offset:         40
        .size:           4
        .value_kind:     by_value
      - .offset:         44
        .size:           4
        .value_kind:     by_value
      - .offset:         48
        .size:           4
        .value_kind:     by_value
      - .offset:         52
        .size:           4
        .value_kind:     by_value
      - .address_space:  global
        .offset:         56
        .size:           8
        .value_kind:     global_buffer
      - .offset:         64
        .size:           4
        .value_kind:     by_value
      - .offset:         68
        .size:           4
        .value_kind:     by_value
      - .offset:         72
        .size:           4
        .value_kind:     by_value
      - .offset:         76
        .size:           8
        .value_kind:     by_value
      - .offset:         84
        .size:           4
        .value_kind:     by_value
      - .address_space:  global
        .offset:         88
        .size:           8
        .value_kind:     global_buffer
      - .offset:         96
        .size:           16
        .value_kind:     by_value
      - .offset:         112
        .size:           1
        .value_kind:     by_value
      - .offset:         120
        .size:           4
        .value_kind:     hidden_block_count_x
      - .offset:         124
        .size:           4
        .value_kind:     hidden_block_count_y
      - .offset:         128
        .size:           4
        .value_kind:     hidden_block_count_z
      - .offset:         132
        .size:           2
        .value_kind:     hidden_group_size_x
      - .offset:         134
        .size:           2
        .value_kind:     hidden_group_size_y
      - .offset:         136
        .size:           2
        .value_kind:     hidden_group_size_z
      - .offset:         138
        .size:           2
        .value_kind:     hidden_remainder_x
      - .offset:         140
        .size:           2
        .value_kind:     hidden_remainder_y
      - .offset:         142
        .size:           2
        .value_kind:     hidden_remainder_z
      - .offset:         160
        .size:           8
        .value_kind:     hidden_global_offset_x
      - .offset:         168
        .size:           8
        .value_kind:     hidden_global_offset_y
      - .offset:         176
        .size:           8
        .value_kind:     hidden_global_offset_z
      - .offset:         184
        .size:           2
        .value_kind:     hidden_grid_dims
    .group_segment_fixed_size: 0
    .kernarg_segment_align: 8
    .kernarg_segment_size: 376
    .language:       OpenCL C
    .language_version:
      - 2
      - 0
    .max_flat_workgroup_size: 1024
    .name:           _ZL10rope_multiILb1ELb0EfEvPKT1_PS0_iiiiiiiiiiPKifff14rope_corr_dimsfPKf14mrope_sectionsb
    .private_segment_fixed_size: 0
    .sgpr_count:     36
    .sgpr_spill_count: 0
    .symbol:         _ZL10rope_multiILb1ELb0EfEvPKT1_PS0_iiiiiiiiiiPKifff14rope_corr_dimsfPKf14mrope_sectionsb.kd
    .uniform_work_group_size: 1
    .uses_dynamic_stack: false
    .vgpr_count:     20
    .vgpr_spill_count: 0
    .wavefront_size: 64
  - .args:
      - .address_space:  global
        .offset:         0
        .size:           8
        .value_kind:     global_buffer
      - .address_space:  global
        .offset:         8
        .size:           8
        .value_kind:     global_buffer
      - .offset:         16
        .size:           4
        .value_kind:     by_value
      - .offset:         20
        .size:           4
        .value_kind:     by_value
      - .offset:         24
        .size:           4
        .value_kind:     by_value
      - .offset:         28
        .size:           4
        .value_kind:     by_value
      - .offset:         32
        .size:           4
        .value_kind:     by_value
      - .offset:         36
        .size:           4
        .value_kind:     by_value
      - .offset:         40
        .size:           4
        .value_kind:     by_value
      - .offset:         44
        .size:           4
        .value_kind:     by_value
      - .offset:         48
        .size:           4
        .value_kind:     by_value
      - .offset:         52
        .size:           4
        .value_kind:     by_value
      - .address_space:  global
        .offset:         56
        .size:           8
        .value_kind:     global_buffer
      - .offset:         64
        .size:           4
        .value_kind:     by_value
      - .offset:         68
        .size:           4
        .value_kind:     by_value
      - .offset:         72
        .size:           4
        .value_kind:     by_value
      - .offset:         76
        .size:           8
        .value_kind:     by_value
      - .offset:         84
        .size:           4
        .value_kind:     by_value
      - .address_space:  global
        .offset:         88
        .size:           8
        .value_kind:     global_buffer
      - .offset:         96
        .size:           16
        .value_kind:     by_value
      - .offset:         112
        .size:           1
        .value_kind:     by_value
      - .offset:         120
        .size:           4
        .value_kind:     hidden_block_count_x
      - .offset:         124
        .size:           4
        .value_kind:     hidden_block_count_y
      - .offset:         128
        .size:           4
        .value_kind:     hidden_block_count_z
      - .offset:         132
        .size:           2
        .value_kind:     hidden_group_size_x
      - .offset:         134
        .size:           2
        .value_kind:     hidden_group_size_y
      - .offset:         136
        .size:           2
        .value_kind:     hidden_group_size_z
      - .offset:         138
        .size:           2
        .value_kind:     hidden_remainder_x
      - .offset:         140
        .size:           2
        .value_kind:     hidden_remainder_y
      - .offset:         142
        .size:           2
        .value_kind:     hidden_remainder_z
      - .offset:         160
        .size:           8
        .value_kind:     hidden_global_offset_x
      - .offset:         168
        .size:           8
        .value_kind:     hidden_global_offset_y
      - .offset:         176
        .size:           8
        .value_kind:     hidden_global_offset_z
      - .offset:         184
        .size:           2
        .value_kind:     hidden_grid_dims
    .group_segment_fixed_size: 0
    .kernarg_segment_align: 8
    .kernarg_segment_size: 376
    .language:       OpenCL C
    .language_version:
      - 2
      - 0
    .max_flat_workgroup_size: 1024
    .name:           _ZL10rope_multiILb1ELb1EfEvPKT1_PS0_iiiiiiiiiiPKifff14rope_corr_dimsfPKf14mrope_sectionsb
    .private_segment_fixed_size: 0
    .sgpr_count:     40
    .sgpr_spill_count: 0
    .symbol:         _ZL10rope_multiILb1ELb1EfEvPKT1_PS0_iiiiiiiiiiPKifff14rope_corr_dimsfPKf14mrope_sectionsb.kd
    .uniform_work_group_size: 1
    .uses_dynamic_stack: false
    .vgpr_count:     21
    .vgpr_spill_count: 0
    .wavefront_size: 64
  - .args:
      - .address_space:  global
        .offset:         0
        .size:           8
        .value_kind:     global_buffer
      - .address_space:  global
        .offset:         8
        .size:           8
        .value_kind:     global_buffer
      - .offset:         16
        .size:           4
        .value_kind:     by_value
      - .offset:         20
        .size:           4
        .value_kind:     by_value
      - .offset:         24
        .size:           4
        .value_kind:     by_value
      - .offset:         28
        .size:           4
        .value_kind:     by_value
      - .offset:         32
        .size:           4
        .value_kind:     by_value
      - .offset:         36
        .size:           4
        .value_kind:     by_value
      - .offset:         40
        .size:           4
        .value_kind:     by_value
      - .offset:         44
        .size:           4
        .value_kind:     by_value
      - .offset:         48
        .size:           4
        .value_kind:     by_value
      - .offset:         52
        .size:           4
        .value_kind:     by_value
      - .address_space:  global
        .offset:         56
        .size:           8
        .value_kind:     global_buffer
      - .offset:         64
        .size:           4
        .value_kind:     by_value
      - .offset:         68
        .size:           4
        .value_kind:     by_value
      - .offset:         72
        .size:           4
        .value_kind:     by_value
      - .offset:         76
        .size:           8
        .value_kind:     by_value
      - .offset:         84
        .size:           4
        .value_kind:     by_value
      - .address_space:  global
        .offset:         88
        .size:           8
        .value_kind:     global_buffer
      - .offset:         96
        .size:           16
        .value_kind:     by_value
      - .offset:         112
        .size:           1
        .value_kind:     by_value
      - .offset:         120
        .size:           4
        .value_kind:     hidden_block_count_x
      - .offset:         124
        .size:           4
        .value_kind:     hidden_block_count_y
      - .offset:         128
        .size:           4
        .value_kind:     hidden_block_count_z
      - .offset:         132
        .size:           2
        .value_kind:     hidden_group_size_x
      - .offset:         134
        .size:           2
        .value_kind:     hidden_group_size_y
      - .offset:         136
        .size:           2
        .value_kind:     hidden_group_size_z
      - .offset:         138
        .size:           2
        .value_kind:     hidden_remainder_x
      - .offset:         140
        .size:           2
        .value_kind:     hidden_remainder_y
      - .offset:         142
        .size:           2
        .value_kind:     hidden_remainder_z
      - .offset:         160
        .size:           8
        .value_kind:     hidden_global_offset_x
      - .offset:         168
        .size:           8
        .value_kind:     hidden_global_offset_y
      - .offset:         176
        .size:           8
        .value_kind:     hidden_global_offset_z
      - .offset:         184
        .size:           2
        .value_kind:     hidden_grid_dims
    .group_segment_fixed_size: 0
    .kernarg_segment_align: 8
    .kernarg_segment_size: 376
    .language:       OpenCL C
    .language_version:
      - 2
      - 0
    .max_flat_workgroup_size: 1024
    .name:           _ZL10rope_multiILb1ELb0E6__halfEvPKT1_PS1_iiiiiiiiiiPKifff14rope_corr_dimsfPKf14mrope_sectionsb
    .private_segment_fixed_size: 0
    .sgpr_count:     36
    .sgpr_spill_count: 0
    .symbol:         _ZL10rope_multiILb1ELb0E6__halfEvPKT1_PS1_iiiiiiiiiiPKifff14rope_corr_dimsfPKf14mrope_sectionsb.kd
    .uniform_work_group_size: 1
    .uses_dynamic_stack: false
    .vgpr_count:     20
    .vgpr_spill_count: 0
    .wavefront_size: 64
  - .args:
      - .address_space:  global
        .offset:         0
        .size:           8
        .value_kind:     global_buffer
      - .address_space:  global
        .offset:         8
        .size:           8
        .value_kind:     global_buffer
      - .offset:         16
        .size:           4
        .value_kind:     by_value
      - .offset:         20
        .size:           4
        .value_kind:     by_value
      - .offset:         24
        .size:           4
        .value_kind:     by_value
      - .offset:         28
        .size:           4
        .value_kind:     by_value
      - .offset:         32
        .size:           4
        .value_kind:     by_value
      - .offset:         36
        .size:           4
        .value_kind:     by_value
      - .offset:         40
        .size:           4
        .value_kind:     by_value
      - .offset:         44
        .size:           4
        .value_kind:     by_value
      - .offset:         48
        .size:           4
        .value_kind:     by_value
      - .offset:         52
        .size:           4
        .value_kind:     by_value
      - .address_space:  global
        .offset:         56
        .size:           8
        .value_kind:     global_buffer
      - .offset:         64
        .size:           4
        .value_kind:     by_value
      - .offset:         68
        .size:           4
        .value_kind:     by_value
      - .offset:         72
        .size:           4
        .value_kind:     by_value
      - .offset:         76
        .size:           8
        .value_kind:     by_value
      - .offset:         84
        .size:           4
        .value_kind:     by_value
      - .address_space:  global
        .offset:         88
        .size:           8
        .value_kind:     global_buffer
      - .offset:         96
        .size:           16
        .value_kind:     by_value
      - .offset:         112
        .size:           1
        .value_kind:     by_value
      - .offset:         120
        .size:           4
        .value_kind:     hidden_block_count_x
      - .offset:         124
        .size:           4
        .value_kind:     hidden_block_count_y
      - .offset:         128
        .size:           4
        .value_kind:     hidden_block_count_z
      - .offset:         132
        .size:           2
        .value_kind:     hidden_group_size_x
      - .offset:         134
        .size:           2
        .value_kind:     hidden_group_size_y
      - .offset:         136
        .size:           2
        .value_kind:     hidden_group_size_z
      - .offset:         138
        .size:           2
        .value_kind:     hidden_remainder_x
      - .offset:         140
        .size:           2
        .value_kind:     hidden_remainder_y
      - .offset:         142
        .size:           2
        .value_kind:     hidden_remainder_z
      - .offset:         160
        .size:           8
        .value_kind:     hidden_global_offset_x
      - .offset:         168
        .size:           8
        .value_kind:     hidden_global_offset_y
      - .offset:         176
        .size:           8
        .value_kind:     hidden_global_offset_z
      - .offset:         184
        .size:           2
        .value_kind:     hidden_grid_dims
    .group_segment_fixed_size: 0
    .kernarg_segment_align: 8
    .kernarg_segment_size: 376
    .language:       OpenCL C
    .language_version:
      - 2
      - 0
    .max_flat_workgroup_size: 1024
    .name:           _ZL10rope_multiILb1ELb1E6__halfEvPKT1_PS1_iiiiiiiiiiPKifff14rope_corr_dimsfPKf14mrope_sectionsb
    .private_segment_fixed_size: 0
    .sgpr_count:     40
    .sgpr_spill_count: 0
    .symbol:         _ZL10rope_multiILb1ELb1E6__halfEvPKT1_PS1_iiiiiiiiiiPKifff14rope_corr_dimsfPKf14mrope_sectionsb.kd
    .uniform_work_group_size: 1
    .uses_dynamic_stack: false
    .vgpr_count:     21
    .vgpr_spill_count: 0
    .wavefront_size: 64
  - .args:
      - .address_space:  global
        .offset:         0
        .size:           8
        .value_kind:     global_buffer
      - .address_space:  global
        .offset:         8
        .size:           8
        .value_kind:     global_buffer
      - .offset:         16
        .size:           4
        .value_kind:     by_value
      - .offset:         20
        .size:           4
        .value_kind:     by_value
      - .offset:         24
        .size:           4
        .value_kind:     by_value
      - .offset:         28
        .size:           4
        .value_kind:     by_value
      - .offset:         32
        .size:           4
        .value_kind:     by_value
      - .offset:         36
        .size:           4
        .value_kind:     by_value
      - .offset:         40
        .size:           4
        .value_kind:     by_value
      - .offset:         44
        .size:           4
        .value_kind:     by_value
      - .offset:         48
        .size:           4
        .value_kind:     by_value
      - .offset:         52
        .size:           4
        .value_kind:     by_value
      - .address_space:  global
        .offset:         56
        .size:           8
        .value_kind:     global_buffer
      - .offset:         64
        .size:           4
        .value_kind:     by_value
      - .offset:         68
        .size:           4
        .value_kind:     by_value
      - .offset:         72
        .size:           4
        .value_kind:     by_value
      - .offset:         76
        .size:           8
        .value_kind:     by_value
      - .offset:         84
        .size:           4
        .value_kind:     by_value
      - .address_space:  global
        .offset:         88
        .size:           8
        .value_kind:     global_buffer
      - .offset:         96
        .size:           16
        .value_kind:     by_value
      - .offset:         112
        .size:           4
        .value_kind:     hidden_block_count_x
      - .offset:         116
        .size:           4
        .value_kind:     hidden_block_count_y
      - .offset:         120
        .size:           4
        .value_kind:     hidden_block_count_z
      - .offset:         124
        .size:           2
        .value_kind:     hidden_group_size_x
      - .offset:         126
        .size:           2
        .value_kind:     hidden_group_size_y
      - .offset:         128
        .size:           2
        .value_kind:     hidden_group_size_z
      - .offset:         130
        .size:           2
        .value_kind:     hidden_remainder_x
      - .offset:         132
        .size:           2
        .value_kind:     hidden_remainder_y
      - .offset:         134
        .size:           2
        .value_kind:     hidden_remainder_z
      - .offset:         152
        .size:           8
        .value_kind:     hidden_global_offset_x
      - .offset:         160
        .size:           8
        .value_kind:     hidden_global_offset_y
      - .offset:         168
        .size:           8
        .value_kind:     hidden_global_offset_z
      - .offset:         176
        .size:           2
        .value_kind:     hidden_grid_dims
    .group_segment_fixed_size: 0
    .kernarg_segment_align: 8
    .kernarg_segment_size: 368
    .language:       OpenCL C
    .language_version:
      - 2
      - 0
    .max_flat_workgroup_size: 1024
    .name:           _ZL11rope_visionILb1ELb0EfEvPKT1_PS0_iiiiiiiiiiPKifff14rope_corr_dimsfPKf14mrope_sections
    .private_segment_fixed_size: 0
    .sgpr_count:     30
    .sgpr_spill_count: 0
    .symbol:         _ZL11rope_visionILb1ELb0EfEvPKT1_PS0_iiiiiiiiiiPKifff14rope_corr_dimsfPKf14mrope_sections.kd
    .uniform_work_group_size: 1
    .uses_dynamic_stack: false
    .vgpr_count:     21
    .vgpr_spill_count: 0
    .wavefront_size: 64
  - .args:
      - .address_space:  global
        .offset:         0
        .size:           8
        .value_kind:     global_buffer
      - .address_space:  global
        .offset:         8
        .size:           8
        .value_kind:     global_buffer
      - .offset:         16
        .size:           4
        .value_kind:     by_value
      - .offset:         20
        .size:           4
        .value_kind:     by_value
      - .offset:         24
        .size:           4
        .value_kind:     by_value
      - .offset:         28
        .size:           4
        .value_kind:     by_value
      - .offset:         32
        .size:           4
        .value_kind:     by_value
      - .offset:         36
        .size:           4
        .value_kind:     by_value
      - .offset:         40
        .size:           4
        .value_kind:     by_value
      - .offset:         44
        .size:           4
        .value_kind:     by_value
      - .offset:         48
        .size:           4
        .value_kind:     by_value
      - .offset:         52
        .size:           4
        .value_kind:     by_value
      - .address_space:  global
        .offset:         56
        .size:           8
        .value_kind:     global_buffer
      - .offset:         64
        .size:           4
        .value_kind:     by_value
      - .offset:         68
        .size:           4
        .value_kind:     by_value
      - .offset:         72
        .size:           4
        .value_kind:     by_value
      - .offset:         76
        .size:           8
        .value_kind:     by_value
      - .offset:         84
        .size:           4
        .value_kind:     by_value
      - .address_space:  global
        .offset:         88
        .size:           8
        .value_kind:     global_buffer
      - .offset:         96
        .size:           16
        .value_kind:     by_value
      - .offset:         112
        .size:           4
        .value_kind:     hidden_block_count_x
      - .offset:         116
        .size:           4
        .value_kind:     hidden_block_count_y
      - .offset:         120
        .size:           4
        .value_kind:     hidden_block_count_z
      - .offset:         124
        .size:           2
        .value_kind:     hidden_group_size_x
      - .offset:         126
        .size:           2
        .value_kind:     hidden_group_size_y
      - .offset:         128
        .size:           2
        .value_kind:     hidden_group_size_z
      - .offset:         130
        .size:           2
        .value_kind:     hidden_remainder_x
      - .offset:         132
        .size:           2
        .value_kind:     hidden_remainder_y
      - .offset:         134
        .size:           2
        .value_kind:     hidden_remainder_z
      - .offset:         152
        .size:           8
        .value_kind:     hidden_global_offset_x
      - .offset:         160
        .size:           8
        .value_kind:     hidden_global_offset_y
      - .offset:         168
        .size:           8
        .value_kind:     hidden_global_offset_z
      - .offset:         176
        .size:           2
        .value_kind:     hidden_grid_dims
    .group_segment_fixed_size: 0
    .kernarg_segment_align: 8
    .kernarg_segment_size: 368
    .language:       OpenCL C
    .language_version:
      - 2
      - 0
    .max_flat_workgroup_size: 1024
    .name:           _ZL11rope_visionILb1ELb1EfEvPKT1_PS0_iiiiiiiiiiPKifff14rope_corr_dimsfPKf14mrope_sections
    .private_segment_fixed_size: 0
    .sgpr_count:     30
    .sgpr_spill_count: 0
    .symbol:         _ZL11rope_visionILb1ELb1EfEvPKT1_PS0_iiiiiiiiiiPKifff14rope_corr_dimsfPKf14mrope_sections.kd
    .uniform_work_group_size: 1
    .uses_dynamic_stack: false
    .vgpr_count:     21
    .vgpr_spill_count: 0
    .wavefront_size: 64
  - .args:
      - .address_space:  global
        .offset:         0
        .size:           8
        .value_kind:     global_buffer
      - .address_space:  global
        .offset:         8
        .size:           8
        .value_kind:     global_buffer
      - .offset:         16
        .size:           4
        .value_kind:     by_value
      - .offset:         20
        .size:           4
        .value_kind:     by_value
      - .offset:         24
        .size:           4
        .value_kind:     by_value
      - .offset:         28
        .size:           4
        .value_kind:     by_value
      - .offset:         32
        .size:           4
        .value_kind:     by_value
      - .offset:         36
        .size:           4
        .value_kind:     by_value
      - .offset:         40
        .size:           4
        .value_kind:     by_value
      - .offset:         44
        .size:           4
        .value_kind:     by_value
      - .offset:         48
        .size:           4
        .value_kind:     by_value
      - .offset:         52
        .size:           4
        .value_kind:     by_value
      - .address_space:  global
        .offset:         56
        .size:           8
        .value_kind:     global_buffer
      - .offset:         64
        .size:           4
        .value_kind:     by_value
      - .offset:         68
        .size:           4
        .value_kind:     by_value
      - .offset:         72
        .size:           4
        .value_kind:     by_value
      - .offset:         76
        .size:           8
        .value_kind:     by_value
      - .offset:         84
        .size:           4
        .value_kind:     by_value
      - .address_space:  global
        .offset:         88
        .size:           8
        .value_kind:     global_buffer
      - .offset:         96
        .size:           16
        .value_kind:     by_value
      - .offset:         112
        .size:           4
        .value_kind:     hidden_block_count_x
      - .offset:         116
        .size:           4
        .value_kind:     hidden_block_count_y
      - .offset:         120
        .size:           4
        .value_kind:     hidden_block_count_z
      - .offset:         124
        .size:           2
        .value_kind:     hidden_group_size_x
      - .offset:         126
        .size:           2
        .value_kind:     hidden_group_size_y
      - .offset:         128
        .size:           2
        .value_kind:     hidden_group_size_z
      - .offset:         130
        .size:           2
        .value_kind:     hidden_remainder_x
      - .offset:         132
        .size:           2
        .value_kind:     hidden_remainder_y
      - .offset:         134
        .size:           2
        .value_kind:     hidden_remainder_z
      - .offset:         152
        .size:           8
        .value_kind:     hidden_global_offset_x
      - .offset:         160
        .size:           8
        .value_kind:     hidden_global_offset_y
      - .offset:         168
        .size:           8
        .value_kind:     hidden_global_offset_z
      - .offset:         176
        .size:           2
        .value_kind:     hidden_grid_dims
    .group_segment_fixed_size: 0
    .kernarg_segment_align: 8
    .kernarg_segment_size: 368
    .language:       OpenCL C
    .language_version:
      - 2
      - 0
    .max_flat_workgroup_size: 1024
    .name:           _ZL11rope_visionILb1ELb0E6__halfEvPKT1_PS1_iiiiiiiiiiPKifff14rope_corr_dimsfPKf14mrope_sections
    .private_segment_fixed_size: 0
    .sgpr_count:     30
    .sgpr_spill_count: 0
    .symbol:         _ZL11rope_visionILb1ELb0E6__halfEvPKT1_PS1_iiiiiiiiiiPKifff14rope_corr_dimsfPKf14mrope_sections.kd
    .uniform_work_group_size: 1
    .uses_dynamic_stack: false
    .vgpr_count:     21
    .vgpr_spill_count: 0
    .wavefront_size: 64
  - .args:
      - .address_space:  global
        .offset:         0
        .size:           8
        .value_kind:     global_buffer
      - .address_space:  global
        .offset:         8
        .size:           8
        .value_kind:     global_buffer
      - .offset:         16
        .size:           4
        .value_kind:     by_value
      - .offset:         20
        .size:           4
        .value_kind:     by_value
      - .offset:         24
        .size:           4
        .value_kind:     by_value
      - .offset:         28
        .size:           4
        .value_kind:     by_value
      - .offset:         32
        .size:           4
        .value_kind:     by_value
      - .offset:         36
        .size:           4
        .value_kind:     by_value
      - .offset:         40
        .size:           4
        .value_kind:     by_value
      - .offset:         44
        .size:           4
        .value_kind:     by_value
      - .offset:         48
        .size:           4
        .value_kind:     by_value
      - .offset:         52
        .size:           4
        .value_kind:     by_value
      - .address_space:  global
        .offset:         56
        .size:           8
        .value_kind:     global_buffer
      - .offset:         64
        .size:           4
        .value_kind:     by_value
      - .offset:         68
        .size:           4
        .value_kind:     by_value
      - .offset:         72
        .size:           4
        .value_kind:     by_value
      - .offset:         76
        .size:           8
        .value_kind:     by_value
      - .offset:         84
        .size:           4
        .value_kind:     by_value
      - .address_space:  global
        .offset:         88
        .size:           8
        .value_kind:     global_buffer
      - .offset:         96
        .size:           16
        .value_kind:     by_value
      - .offset:         112
        .size:           4
        .value_kind:     hidden_block_count_x
      - .offset:         116
        .size:           4
        .value_kind:     hidden_block_count_y
      - .offset:         120
        .size:           4
        .value_kind:     hidden_block_count_z
      - .offset:         124
        .size:           2
        .value_kind:     hidden_group_size_x
      - .offset:         126
        .size:           2
        .value_kind:     hidden_group_size_y
      - .offset:         128
        .size:           2
        .value_kind:     hidden_group_size_z
      - .offset:         130
        .size:           2
        .value_kind:     hidden_remainder_x
      - .offset:         132
        .size:           2
        .value_kind:     hidden_remainder_y
      - .offset:         134
        .size:           2
        .value_kind:     hidden_remainder_z
      - .offset:         152
        .size:           8
        .value_kind:     hidden_global_offset_x
      - .offset:         160
        .size:           8
        .value_kind:     hidden_global_offset_y
      - .offset:         168
        .size:           8
        .value_kind:     hidden_global_offset_z
      - .offset:         176
        .size:           2
        .value_kind:     hidden_grid_dims
    .group_segment_fixed_size: 0
    .kernarg_segment_align: 8
    .kernarg_segment_size: 368
    .language:       OpenCL C
    .language_version:
      - 2
      - 0
    .max_flat_workgroup_size: 1024
    .name:           _ZL11rope_visionILb1ELb1E6__halfEvPKT1_PS1_iiiiiiiiiiPKifff14rope_corr_dimsfPKf14mrope_sections
    .private_segment_fixed_size: 0
    .sgpr_count:     30
    .sgpr_spill_count: 0
    .symbol:         _ZL11rope_visionILb1ELb1E6__halfEvPKT1_PS1_iiiiiiiiiiPKifff14rope_corr_dimsfPKf14mrope_sections.kd
    .uniform_work_group_size: 1
    .uses_dynamic_stack: false
    .vgpr_count:     21
    .vgpr_spill_count: 0
    .wavefront_size: 64
  - .args:
      - .address_space:  global
        .offset:         0
        .size:           8
        .value_kind:     global_buffer
      - .address_space:  global
        .offset:         8
        .size:           8
        .value_kind:     global_buffer
      - .offset:         16
        .size:           4
        .value_kind:     by_value
      - .offset:         20
        .size:           4
        .value_kind:     by_value
      - .offset:         24
        .size:           4
        .value_kind:     by_value
      - .offset:         28
        .size:           4
        .value_kind:     by_value
      - .offset:         32
        .size:           4
        .value_kind:     by_value
      - .offset:         36
        .size:           4
        .value_kind:     by_value
      - .offset:         40
        .size:           4
        .value_kind:     by_value
      - .offset:         44
        .size:           4
        .value_kind:     by_value
      - .offset:         48
        .size:           4
        .value_kind:     by_value
      - .offset:         52
        .size:           4
        .value_kind:     by_value
      - .address_space:  global
        .offset:         56
        .size:           8
        .value_kind:     global_buffer
      - .offset:         64
        .size:           4
        .value_kind:     by_value
      - .offset:         68
        .size:           4
        .value_kind:     by_value
      - .offset:         72
        .size:           4
        .value_kind:     by_value
      - .offset:         76
        .size:           8
        .value_kind:     by_value
      - .offset:         84
        .size:           4
        .value_kind:     by_value
      - .address_space:  global
        .offset:         88
        .size:           8
        .value_kind:     global_buffer
      - .address_space:  global
        .offset:         96
        .size:           8
        .value_kind:     global_buffer
      - .offset:         104
        .size:           4
        .value_kind:     by_value
      - .offset:         112
        .size:           4
        .value_kind:     hidden_block_count_x
      - .offset:         116
        .size:           4
        .value_kind:     hidden_block_count_y
      - .offset:         120
        .size:           4
        .value_kind:     hidden_block_count_z
      - .offset:         124
        .size:           2
        .value_kind:     hidden_group_size_x
      - .offset:         126
        .size:           2
        .value_kind:     hidden_group_size_y
      - .offset:         128
        .size:           2
        .value_kind:     hidden_group_size_z
      - .offset:         130
        .size:           2
        .value_kind:     hidden_remainder_x
      - .offset:         132
        .size:           2
        .value_kind:     hidden_remainder_y
      - .offset:         134
        .size:           2
        .value_kind:     hidden_remainder_z
      - .offset:         152
        .size:           8
        .value_kind:     hidden_global_offset_x
      - .offset:         160
        .size:           8
        .value_kind:     hidden_global_offset_y
      - .offset:         168
        .size:           8
        .value_kind:     hidden_global_offset_z
      - .offset:         176
        .size:           2
        .value_kind:     hidden_grid_dims
    .group_segment_fixed_size: 0
    .kernarg_segment_align: 8
    .kernarg_segment_size: 368
    .language:       OpenCL C
    .language_version:
      - 2
      - 0
    .max_flat_workgroup_size: 1024
    .name:           _ZL9rope_normILb1ELb0EffEvPKT1_PT2_iiiiiiiiiiPKifff14rope_corr_dimsfPKfPKli
    .private_segment_fixed_size: 0
    .sgpr_count:     22
    .sgpr_spill_count: 0
    .symbol:         _ZL9rope_normILb1ELb0EffEvPKT1_PT2_iiiiiiiiiiPKifff14rope_corr_dimsfPKfPKli.kd
    .uniform_work_group_size: 1
    .uses_dynamic_stack: false
    .vgpr_count:     21
    .vgpr_spill_count: 0
    .wavefront_size: 64
  - .args:
      - .address_space:  global
        .offset:         0
        .size:           8
        .value_kind:     global_buffer
      - .address_space:  global
        .offset:         8
        .size:           8
        .value_kind:     global_buffer
      - .offset:         16
        .size:           4
        .value_kind:     by_value
      - .offset:         20
        .size:           4
        .value_kind:     by_value
      - .offset:         24
        .size:           4
        .value_kind:     by_value
      - .offset:         28
        .size:           4
        .value_kind:     by_value
      - .offset:         32
        .size:           4
        .value_kind:     by_value
      - .offset:         36
        .size:           4
        .value_kind:     by_value
      - .offset:         40
        .size:           4
        .value_kind:     by_value
      - .offset:         44
        .size:           4
        .value_kind:     by_value
      - .offset:         48
        .size:           4
        .value_kind:     by_value
      - .offset:         52
        .size:           4
        .value_kind:     by_value
      - .address_space:  global
        .offset:         56
        .size:           8
        .value_kind:     global_buffer
      - .offset:         64
        .size:           4
        .value_kind:     by_value
      - .offset:         68
        .size:           4
        .value_kind:     by_value
      - .offset:         72
        .size:           4
        .value_kind:     by_value
      - .offset:         76
        .size:           8
        .value_kind:     by_value
      - .offset:         84
        .size:           4
        .value_kind:     by_value
      - .address_space:  global
        .offset:         88
        .size:           8
        .value_kind:     global_buffer
      - .address_space:  global
        .offset:         96
        .size:           8
        .value_kind:     global_buffer
      - .offset:         104
        .size:           4
        .value_kind:     by_value
      - .offset:         112
        .size:           4
        .value_kind:     hidden_block_count_x
      - .offset:         116
        .size:           4
        .value_kind:     hidden_block_count_y
      - .offset:         120
        .size:           4
        .value_kind:     hidden_block_count_z
      - .offset:         124
        .size:           2
        .value_kind:     hidden_group_size_x
      - .offset:         126
        .size:           2
        .value_kind:     hidden_group_size_y
      - .offset:         128
        .size:           2
        .value_kind:     hidden_group_size_z
      - .offset:         130
        .size:           2
        .value_kind:     hidden_remainder_x
      - .offset:         132
        .size:           2
        .value_kind:     hidden_remainder_y
      - .offset:         134
        .size:           2
        .value_kind:     hidden_remainder_z
      - .offset:         152
        .size:           8
        .value_kind:     hidden_global_offset_x
      - .offset:         160
        .size:           8
        .value_kind:     hidden_global_offset_y
      - .offset:         168
        .size:           8
        .value_kind:     hidden_global_offset_z
      - .offset:         176
        .size:           2
        .value_kind:     hidden_grid_dims
    .group_segment_fixed_size: 0
    .kernarg_segment_align: 8
    .kernarg_segment_size: 368
    .language:       OpenCL C
    .language_version:
      - 2
      - 0
    .max_flat_workgroup_size: 1024
    .name:           _ZL9rope_normILb1ELb1EffEvPKT1_PT2_iiiiiiiiiiPKifff14rope_corr_dimsfPKfPKli
    .private_segment_fixed_size: 0
    .sgpr_count:     20
    .sgpr_spill_count: 0
    .symbol:         _ZL9rope_normILb1ELb1EffEvPKT1_PT2_iiiiiiiiiiPKifff14rope_corr_dimsfPKfPKli.kd
    .uniform_work_group_size: 1
    .uses_dynamic_stack: false
    .vgpr_count:     21
    .vgpr_spill_count: 0
    .wavefront_size: 64
  - .args:
      - .address_space:  global
        .offset:         0
        .size:           8
        .value_kind:     global_buffer
      - .address_space:  global
        .offset:         8
        .size:           8
        .value_kind:     global_buffer
      - .offset:         16
        .size:           4
        .value_kind:     by_value
      - .offset:         20
        .size:           4
        .value_kind:     by_value
      - .offset:         24
        .size:           4
        .value_kind:     by_value
      - .offset:         28
        .size:           4
        .value_kind:     by_value
      - .offset:         32
        .size:           4
        .value_kind:     by_value
      - .offset:         36
        .size:           4
        .value_kind:     by_value
      - .offset:         40
        .size:           4
        .value_kind:     by_value
      - .offset:         44
        .size:           4
        .value_kind:     by_value
      - .offset:         48
        .size:           4
        .value_kind:     by_value
      - .offset:         52
        .size:           4
        .value_kind:     by_value
      - .address_space:  global
        .offset:         56
        .size:           8
        .value_kind:     global_buffer
      - .offset:         64
        .size:           4
        .value_kind:     by_value
      - .offset:         68
        .size:           4
        .value_kind:     by_value
      - .offset:         72
        .size:           4
        .value_kind:     by_value
      - .offset:         76
        .size:           8
        .value_kind:     by_value
      - .offset:         84
        .size:           4
        .value_kind:     by_value
      - .address_space:  global
        .offset:         88
        .size:           8
        .value_kind:     global_buffer
      - .address_space:  global
        .offset:         96
        .size:           8
        .value_kind:     global_buffer
      - .offset:         104
        .size:           4
        .value_kind:     by_value
      - .offset:         112
        .size:           4
        .value_kind:     hidden_block_count_x
      - .offset:         116
        .size:           4
        .value_kind:     hidden_block_count_y
      - .offset:         120
        .size:           4
        .value_kind:     hidden_block_count_z
      - .offset:         124
        .size:           2
        .value_kind:     hidden_group_size_x
      - .offset:         126
        .size:           2
        .value_kind:     hidden_group_size_y
      - .offset:         128
        .size:           2
        .value_kind:     hidden_group_size_z
      - .offset:         130
        .size:           2
        .value_kind:     hidden_remainder_x
      - .offset:         132
        .size:           2
        .value_kind:     hidden_remainder_y
      - .offset:         134
        .size:           2
        .value_kind:     hidden_remainder_z
      - .offset:         152
        .size:           8
        .value_kind:     hidden_global_offset_x
      - .offset:         160
        .size:           8
        .value_kind:     hidden_global_offset_y
      - .offset:         168
        .size:           8
        .value_kind:     hidden_global_offset_z
      - .offset:         176
        .size:           2
        .value_kind:     hidden_grid_dims
    .group_segment_fixed_size: 0
    .kernarg_segment_align: 8
    .kernarg_segment_size: 368
    .language:       OpenCL C
    .language_version:
      - 2
      - 0
    .max_flat_workgroup_size: 1024
    .name:           _ZL9rope_normILb1ELb0Ef6__halfEvPKT1_PT2_iiiiiiiiiiPKifff14rope_corr_dimsfPKfPKli
    .private_segment_fixed_size: 0
    .sgpr_count:     26
    .sgpr_spill_count: 0
    .symbol:         _ZL9rope_normILb1ELb0Ef6__halfEvPKT1_PT2_iiiiiiiiiiPKifff14rope_corr_dimsfPKfPKli.kd
    .uniform_work_group_size: 1
    .uses_dynamic_stack: false
    .vgpr_count:     23
    .vgpr_spill_count: 0
    .wavefront_size: 64
  - .args:
      - .address_space:  global
        .offset:         0
        .size:           8
        .value_kind:     global_buffer
      - .address_space:  global
        .offset:         8
        .size:           8
        .value_kind:     global_buffer
      - .offset:         16
        .size:           4
        .value_kind:     by_value
      - .offset:         20
        .size:           4
        .value_kind:     by_value
      - .offset:         24
        .size:           4
        .value_kind:     by_value
      - .offset:         28
        .size:           4
        .value_kind:     by_value
      - .offset:         32
        .size:           4
        .value_kind:     by_value
      - .offset:         36
        .size:           4
        .value_kind:     by_value
      - .offset:         40
        .size:           4
        .value_kind:     by_value
      - .offset:         44
        .size:           4
        .value_kind:     by_value
      - .offset:         48
        .size:           4
        .value_kind:     by_value
      - .offset:         52
        .size:           4
        .value_kind:     by_value
      - .address_space:  global
        .offset:         56
        .size:           8
        .value_kind:     global_buffer
      - .offset:         64
        .size:           4
        .value_kind:     by_value
      - .offset:         68
        .size:           4
        .value_kind:     by_value
      - .offset:         72
        .size:           4
        .value_kind:     by_value
      - .offset:         76
        .size:           8
        .value_kind:     by_value
      - .offset:         84
        .size:           4
        .value_kind:     by_value
      - .address_space:  global
        .offset:         88
        .size:           8
        .value_kind:     global_buffer
      - .address_space:  global
        .offset:         96
        .size:           8
        .value_kind:     global_buffer
      - .offset:         104
        .size:           4
        .value_kind:     by_value
      - .offset:         112
        .size:           4
        .value_kind:     hidden_block_count_x
      - .offset:         116
        .size:           4
        .value_kind:     hidden_block_count_y
      - .offset:         120
        .size:           4
        .value_kind:     hidden_block_count_z
      - .offset:         124
        .size:           2
        .value_kind:     hidden_group_size_x
      - .offset:         126
        .size:           2
        .value_kind:     hidden_group_size_y
      - .offset:         128
        .size:           2
        .value_kind:     hidden_group_size_z
      - .offset:         130
        .size:           2
        .value_kind:     hidden_remainder_x
      - .offset:         132
        .size:           2
        .value_kind:     hidden_remainder_y
      - .offset:         134
        .size:           2
        .value_kind:     hidden_remainder_z
      - .offset:         152
        .size:           8
        .value_kind:     hidden_global_offset_x
      - .offset:         160
        .size:           8
        .value_kind:     hidden_global_offset_y
      - .offset:         168
        .size:           8
        .value_kind:     hidden_global_offset_z
      - .offset:         176
        .size:           2
        .value_kind:     hidden_grid_dims
    .group_segment_fixed_size: 0
    .kernarg_segment_align: 8
    .kernarg_segment_size: 368
    .language:       OpenCL C
    .language_version:
      - 2
      - 0
    .max_flat_workgroup_size: 1024
    .name:           _ZL9rope_normILb1ELb1Ef6__halfEvPKT1_PT2_iiiiiiiiiiPKifff14rope_corr_dimsfPKfPKli
    .private_segment_fixed_size: 0
    .sgpr_count:     23
    .sgpr_spill_count: 0
    .symbol:         _ZL9rope_normILb1ELb1Ef6__halfEvPKT1_PT2_iiiiiiiiiiPKifff14rope_corr_dimsfPKfPKli.kd
    .uniform_work_group_size: 1
    .uses_dynamic_stack: false
    .vgpr_count:     23
    .vgpr_spill_count: 0
    .wavefront_size: 64
  - .args:
      - .address_space:  global
        .offset:         0
        .size:           8
        .value_kind:     global_buffer
      - .address_space:  global
        .offset:         8
        .size:           8
        .value_kind:     global_buffer
      - .offset:         16
        .size:           4
        .value_kind:     by_value
      - .offset:         20
        .size:           4
        .value_kind:     by_value
      - .offset:         24
        .size:           4
        .value_kind:     by_value
      - .offset:         28
        .size:           4
        .value_kind:     by_value
      - .offset:         32
        .size:           4
        .value_kind:     by_value
      - .offset:         36
        .size:           4
        .value_kind:     by_value
      - .offset:         40
        .size:           4
        .value_kind:     by_value
      - .offset:         44
        .size:           4
        .value_kind:     by_value
      - .offset:         48
        .size:           4
        .value_kind:     by_value
      - .offset:         52
        .size:           4
        .value_kind:     by_value
      - .address_space:  global
        .offset:         56
        .size:           8
        .value_kind:     global_buffer
      - .offset:         64
        .size:           4
        .value_kind:     by_value
      - .offset:         68
        .size:           4
        .value_kind:     by_value
      - .offset:         72
        .size:           4
        .value_kind:     by_value
      - .offset:         76
        .size:           8
        .value_kind:     by_value
      - .offset:         84
        .size:           4
        .value_kind:     by_value
      - .address_space:  global
        .offset:         88
        .size:           8
        .value_kind:     global_buffer
      - .address_space:  global
        .offset:         96
        .size:           8
        .value_kind:     global_buffer
      - .offset:         104
        .size:           4
        .value_kind:     by_value
      - .offset:         112
        .size:           4
        .value_kind:     hidden_block_count_x
      - .offset:         116
        .size:           4
        .value_kind:     hidden_block_count_y
      - .offset:         120
        .size:           4
        .value_kind:     hidden_block_count_z
      - .offset:         124
        .size:           2
        .value_kind:     hidden_group_size_x
      - .offset:         126
        .size:           2
        .value_kind:     hidden_group_size_y
      - .offset:         128
        .size:           2
        .value_kind:     hidden_group_size_z
      - .offset:         130
        .size:           2
        .value_kind:     hidden_remainder_x
      - .offset:         132
        .size:           2
        .value_kind:     hidden_remainder_y
      - .offset:         134
        .size:           2
        .value_kind:     hidden_remainder_z
      - .offset:         152
        .size:           8
        .value_kind:     hidden_global_offset_x
      - .offset:         160
        .size:           8
        .value_kind:     hidden_global_offset_y
      - .offset:         168
        .size:           8
        .value_kind:     hidden_global_offset_z
      - .offset:         176
        .size:           2
        .value_kind:     hidden_grid_dims
    .group_segment_fixed_size: 0
    .kernarg_segment_align: 8
    .kernarg_segment_size: 368
    .language:       OpenCL C
    .language_version:
      - 2
      - 0
    .max_flat_workgroup_size: 1024
    .name:           _ZL9rope_normILb1ELb0E6__halfS0_EvPKT1_PT2_iiiiiiiiiiPKifff14rope_corr_dimsfPKfPKli
    .private_segment_fixed_size: 0
    .sgpr_count:     26
    .sgpr_spill_count: 0
    .symbol:         _ZL9rope_normILb1ELb0E6__halfS0_EvPKT1_PT2_iiiiiiiiiiPKifff14rope_corr_dimsfPKfPKli.kd
    .uniform_work_group_size: 1
    .uses_dynamic_stack: false
    .vgpr_count:     23
    .vgpr_spill_count: 0
    .wavefront_size: 64
  - .args:
      - .address_space:  global
        .offset:         0
        .size:           8
        .value_kind:     global_buffer
      - .address_space:  global
        .offset:         8
        .size:           8
        .value_kind:     global_buffer
      - .offset:         16
        .size:           4
        .value_kind:     by_value
      - .offset:         20
        .size:           4
        .value_kind:     by_value
      - .offset:         24
        .size:           4
        .value_kind:     by_value
      - .offset:         28
        .size:           4
        .value_kind:     by_value
      - .offset:         32
        .size:           4
        .value_kind:     by_value
      - .offset:         36
        .size:           4
        .value_kind:     by_value
      - .offset:         40
        .size:           4
        .value_kind:     by_value
      - .offset:         44
        .size:           4
        .value_kind:     by_value
      - .offset:         48
        .size:           4
        .value_kind:     by_value
      - .offset:         52
        .size:           4
        .value_kind:     by_value
      - .address_space:  global
        .offset:         56
        .size:           8
        .value_kind:     global_buffer
      - .offset:         64
        .size:           4
        .value_kind:     by_value
      - .offset:         68
        .size:           4
        .value_kind:     by_value
      - .offset:         72
        .size:           4
        .value_kind:     by_value
      - .offset:         76
        .size:           8
        .value_kind:     by_value
      - .offset:         84
        .size:           4
        .value_kind:     by_value
      - .address_space:  global
        .offset:         88
        .size:           8
        .value_kind:     global_buffer
      - .address_space:  global
        .offset:         96
        .size:           8
        .value_kind:     global_buffer
      - .offset:         104
        .size:           4
        .value_kind:     by_value
      - .offset:         112
        .size:           4
        .value_kind:     hidden_block_count_x
      - .offset:         116
        .size:           4
        .value_kind:     hidden_block_count_y
      - .offset:         120
        .size:           4
        .value_kind:     hidden_block_count_z
      - .offset:         124
        .size:           2
        .value_kind:     hidden_group_size_x
      - .offset:         126
        .size:           2
        .value_kind:     hidden_group_size_y
      - .offset:         128
        .size:           2
        .value_kind:     hidden_group_size_z
      - .offset:         130
        .size:           2
        .value_kind:     hidden_remainder_x
      - .offset:         132
        .size:           2
        .value_kind:     hidden_remainder_y
      - .offset:         134
        .size:           2
        .value_kind:     hidden_remainder_z
      - .offset:         152
        .size:           8
        .value_kind:     hidden_global_offset_x
      - .offset:         160
        .size:           8
        .value_kind:     hidden_global_offset_y
      - .offset:         168
        .size:           8
        .value_kind:     hidden_global_offset_z
      - .offset:         176
        .size:           2
        .value_kind:     hidden_grid_dims
    .group_segment_fixed_size: 0
    .kernarg_segment_align: 8
    .kernarg_segment_size: 368
    .language:       OpenCL C
    .language_version:
      - 2
      - 0
    .max_flat_workgroup_size: 1024
    .name:           _ZL9rope_normILb1ELb1E6__halfS0_EvPKT1_PT2_iiiiiiiiiiPKifff14rope_corr_dimsfPKfPKli
    .private_segment_fixed_size: 0
    .sgpr_count:     23
    .sgpr_spill_count: 0
    .symbol:         _ZL9rope_normILb1ELb1E6__halfS0_EvPKT1_PT2_iiiiiiiiiiPKifff14rope_corr_dimsfPKfPKli.kd
    .uniform_work_group_size: 1
    .uses_dynamic_stack: false
    .vgpr_count:     23
    .vgpr_spill_count: 0
    .wavefront_size: 64
  - .args:
      - .address_space:  global
        .offset:         0
        .size:           8
        .value_kind:     global_buffer
      - .address_space:  global
        .offset:         8
        .size:           8
        .value_kind:     global_buffer
      - .offset:         16
        .size:           4
        .value_kind:     by_value
      - .offset:         20
        .size:           4
        .value_kind:     by_value
      - .offset:         24
        .size:           4
        .value_kind:     by_value
      - .offset:         28
        .size:           4
        .value_kind:     by_value
      - .offset:         32
        .size:           4
        .value_kind:     by_value
      - .offset:         36
        .size:           4
        .value_kind:     by_value
      - .offset:         40
        .size:           4
        .value_kind:     by_value
      - .offset:         44
        .size:           4
        .value_kind:     by_value
      - .offset:         48
        .size:           4
        .value_kind:     by_value
      - .offset:         52
        .size:           4
        .value_kind:     by_value
      - .address_space:  global
        .offset:         56
        .size:           8
        .value_kind:     global_buffer
      - .offset:         64
        .size:           4
        .value_kind:     by_value
      - .offset:         68
        .size:           4
        .value_kind:     by_value
      - .offset:         72
        .size:           4
        .value_kind:     by_value
      - .offset:         76
        .size:           8
        .value_kind:     by_value
      - .offset:         84
        .size:           4
        .value_kind:     by_value
      - .address_space:  global
        .offset:         88
        .size:           8
        .value_kind:     global_buffer
      - .address_space:  global
        .offset:         96
        .size:           8
        .value_kind:     global_buffer
      - .offset:         104
        .size:           4
        .value_kind:     by_value
      - .offset:         112
        .size:           4
        .value_kind:     hidden_block_count_x
      - .offset:         116
        .size:           4
        .value_kind:     hidden_block_count_y
      - .offset:         120
        .size:           4
        .value_kind:     hidden_block_count_z
      - .offset:         124
        .size:           2
        .value_kind:     hidden_group_size_x
      - .offset:         126
        .size:           2
        .value_kind:     hidden_group_size_y
      - .offset:         128
        .size:           2
        .value_kind:     hidden_group_size_z
      - .offset:         130
        .size:           2
        .value_kind:     hidden_remainder_x
      - .offset:         132
        .size:           2
        .value_kind:     hidden_remainder_y
      - .offset:         134
        .size:           2
        .value_kind:     hidden_remainder_z
      - .offset:         152
        .size:           8
        .value_kind:     hidden_global_offset_x
      - .offset:         160
        .size:           8
        .value_kind:     hidden_global_offset_y
      - .offset:         168
        .size:           8
        .value_kind:     hidden_global_offset_z
      - .offset:         176
        .size:           2
        .value_kind:     hidden_grid_dims
    .group_segment_fixed_size: 0
    .kernarg_segment_align: 8
    .kernarg_segment_size: 368
    .language:       OpenCL C
    .language_version:
      - 2
      - 0
    .max_flat_workgroup_size: 1024
    .name:           _ZL9rope_neoxILb0ELb0EffEvPKT1_PT2_iiiiiiiiiiPKifff14rope_corr_dimsfPKfPKli
    .private_segment_fixed_size: 0
    .sgpr_count:     24
    .sgpr_spill_count: 0
    .symbol:         _ZL9rope_neoxILb0ELb0EffEvPKT1_PT2_iiiiiiiiiiPKifff14rope_corr_dimsfPKfPKli.kd
    .uniform_work_group_size: 1
    .uses_dynamic_stack: false
    .vgpr_count:     20
    .vgpr_spill_count: 0
    .wavefront_size: 64
  - .args:
      - .address_space:  global
        .offset:         0
        .size:           8
        .value_kind:     global_buffer
      - .address_space:  global
        .offset:         8
        .size:           8
        .value_kind:     global_buffer
      - .offset:         16
        .size:           4
        .value_kind:     by_value
      - .offset:         20
        .size:           4
        .value_kind:     by_value
      - .offset:         24
        .size:           4
        .value_kind:     by_value
      - .offset:         28
        .size:           4
        .value_kind:     by_value
      - .offset:         32
        .size:           4
        .value_kind:     by_value
      - .offset:         36
        .size:           4
        .value_kind:     by_value
      - .offset:         40
        .size:           4
        .value_kind:     by_value
      - .offset:         44
        .size:           4
        .value_kind:     by_value
      - .offset:         48
        .size:           4
        .value_kind:     by_value
      - .offset:         52
        .size:           4
        .value_kind:     by_value
      - .address_space:  global
        .offset:         56
        .size:           8
        .value_kind:     global_buffer
      - .offset:         64
        .size:           4
        .value_kind:     by_value
      - .offset:         68
        .size:           4
        .value_kind:     by_value
      - .offset:         72
        .size:           4
        .value_kind:     by_value
      - .offset:         76
        .size:           8
        .value_kind:     by_value
      - .offset:         84
        .size:           4
        .value_kind:     by_value
      - .address_space:  global
        .offset:         88
        .size:           8
        .value_kind:     global_buffer
      - .address_space:  global
        .offset:         96
        .size:           8
        .value_kind:     global_buffer
      - .offset:         104
        .size:           4
        .value_kind:     by_value
      - .offset:         112
        .size:           4
        .value_kind:     hidden_block_count_x
      - .offset:         116
        .size:           4
        .value_kind:     hidden_block_count_y
      - .offset:         120
        .size:           4
        .value_kind:     hidden_block_count_z
      - .offset:         124
        .size:           2
        .value_kind:     hidden_group_size_x
      - .offset:         126
        .size:           2
        .value_kind:     hidden_group_size_y
      - .offset:         128
        .size:           2
        .value_kind:     hidden_group_size_z
      - .offset:         130
        .size:           2
        .value_kind:     hidden_remainder_x
      - .offset:         132
        .size:           2
        .value_kind:     hidden_remainder_y
      - .offset:         134
        .size:           2
        .value_kind:     hidden_remainder_z
      - .offset:         152
        .size:           8
        .value_kind:     hidden_global_offset_x
      - .offset:         160
        .size:           8
        .value_kind:     hidden_global_offset_y
      - .offset:         168
        .size:           8
        .value_kind:     hidden_global_offset_z
      - .offset:         176
        .size:           2
        .value_kind:     hidden_grid_dims
    .group_segment_fixed_size: 0
    .kernarg_segment_align: 8
    .kernarg_segment_size: 368
    .language:       OpenCL C
    .language_version:
      - 2
      - 0
    .max_flat_workgroup_size: 1024
    .name:           _ZL9rope_neoxILb0ELb1EffEvPKT1_PT2_iiiiiiiiiiPKifff14rope_corr_dimsfPKfPKli
    .private_segment_fixed_size: 0
    .sgpr_count:     22
    .sgpr_spill_count: 0
    .symbol:         _ZL9rope_neoxILb0ELb1EffEvPKT1_PT2_iiiiiiiiiiPKifff14rope_corr_dimsfPKfPKli.kd
    .uniform_work_group_size: 1
    .uses_dynamic_stack: false
    .vgpr_count:     20
    .vgpr_spill_count: 0
    .wavefront_size: 64
  - .args:
      - .address_space:  global
        .offset:         0
        .size:           8
        .value_kind:     global_buffer
      - .address_space:  global
        .offset:         8
        .size:           8
        .value_kind:     global_buffer
      - .offset:         16
        .size:           4
        .value_kind:     by_value
      - .offset:         20
        .size:           4
        .value_kind:     by_value
      - .offset:         24
        .size:           4
        .value_kind:     by_value
      - .offset:         28
        .size:           4
        .value_kind:     by_value
      - .offset:         32
        .size:           4
        .value_kind:     by_value
      - .offset:         36
        .size:           4
        .value_kind:     by_value
      - .offset:         40
        .size:           4
        .value_kind:     by_value
      - .offset:         44
        .size:           4
        .value_kind:     by_value
      - .offset:         48
        .size:           4
        .value_kind:     by_value
      - .offset:         52
        .size:           4
        .value_kind:     by_value
      - .address_space:  global
        .offset:         56
        .size:           8
        .value_kind:     global_buffer
      - .offset:         64
        .size:           4
        .value_kind:     by_value
      - .offset:         68
        .size:           4
        .value_kind:     by_value
      - .offset:         72
        .size:           4
        .value_kind:     by_value
      - .offset:         76
        .size:           8
        .value_kind:     by_value
      - .offset:         84
        .size:           4
        .value_kind:     by_value
      - .address_space:  global
        .offset:         88
        .size:           8
        .value_kind:     global_buffer
      - .address_space:  global
        .offset:         96
        .size:           8
        .value_kind:     global_buffer
      - .offset:         104
        .size:           4
        .value_kind:     by_value
      - .offset:         112
        .size:           4
        .value_kind:     hidden_block_count_x
      - .offset:         116
        .size:           4
        .value_kind:     hidden_block_count_y
      - .offset:         120
        .size:           4
        .value_kind:     hidden_block_count_z
      - .offset:         124
        .size:           2
        .value_kind:     hidden_group_size_x
      - .offset:         126
        .size:           2
        .value_kind:     hidden_group_size_y
      - .offset:         128
        .size:           2
        .value_kind:     hidden_group_size_z
      - .offset:         130
        .size:           2
        .value_kind:     hidden_remainder_x
      - .offset:         132
        .size:           2
        .value_kind:     hidden_remainder_y
      - .offset:         134
        .size:           2
        .value_kind:     hidden_remainder_z
      - .offset:         152
        .size:           8
        .value_kind:     hidden_global_offset_x
      - .offset:         160
        .size:           8
        .value_kind:     hidden_global_offset_y
      - .offset:         168
        .size:           8
        .value_kind:     hidden_global_offset_z
      - .offset:         176
        .size:           2
        .value_kind:     hidden_grid_dims
    .group_segment_fixed_size: 0
    .kernarg_segment_align: 8
    .kernarg_segment_size: 368
    .language:       OpenCL C
    .language_version:
      - 2
      - 0
    .max_flat_workgroup_size: 1024
    .name:           _ZL9rope_neoxILb0ELb0Ef6__halfEvPKT1_PT2_iiiiiiiiiiPKifff14rope_corr_dimsfPKfPKli
    .private_segment_fixed_size: 0
    .sgpr_count:     24
    .sgpr_spill_count: 0
    .symbol:         _ZL9rope_neoxILb0ELb0Ef6__halfEvPKT1_PT2_iiiiiiiiiiPKifff14rope_corr_dimsfPKfPKli.kd
    .uniform_work_group_size: 1
    .uses_dynamic_stack: false
    .vgpr_count:     20
    .vgpr_spill_count: 0
    .wavefront_size: 64
  - .args:
      - .address_space:  global
        .offset:         0
        .size:           8
        .value_kind:     global_buffer
      - .address_space:  global
        .offset:         8
        .size:           8
        .value_kind:     global_buffer
      - .offset:         16
        .size:           4
        .value_kind:     by_value
      - .offset:         20
        .size:           4
        .value_kind:     by_value
      - .offset:         24
        .size:           4
        .value_kind:     by_value
      - .offset:         28
        .size:           4
        .value_kind:     by_value
      - .offset:         32
        .size:           4
        .value_kind:     by_value
      - .offset:         36
        .size:           4
        .value_kind:     by_value
      - .offset:         40
        .size:           4
        .value_kind:     by_value
      - .offset:         44
        .size:           4
        .value_kind:     by_value
      - .offset:         48
        .size:           4
        .value_kind:     by_value
      - .offset:         52
        .size:           4
        .value_kind:     by_value
      - .address_space:  global
        .offset:         56
        .size:           8
        .value_kind:     global_buffer
      - .offset:         64
        .size:           4
        .value_kind:     by_value
      - .offset:         68
        .size:           4
        .value_kind:     by_value
      - .offset:         72
        .size:           4
        .value_kind:     by_value
      - .offset:         76
        .size:           8
        .value_kind:     by_value
      - .offset:         84
        .size:           4
        .value_kind:     by_value
      - .address_space:  global
        .offset:         88
        .size:           8
        .value_kind:     global_buffer
      - .address_space:  global
        .offset:         96
        .size:           8
        .value_kind:     global_buffer
      - .offset:         104
        .size:           4
        .value_kind:     by_value
      - .offset:         112
        .size:           4
        .value_kind:     hidden_block_count_x
      - .offset:         116
        .size:           4
        .value_kind:     hidden_block_count_y
      - .offset:         120
        .size:           4
        .value_kind:     hidden_block_count_z
      - .offset:         124
        .size:           2
        .value_kind:     hidden_group_size_x
      - .offset:         126
        .size:           2
        .value_kind:     hidden_group_size_y
      - .offset:         128
        .size:           2
        .value_kind:     hidden_group_size_z
      - .offset:         130
        .size:           2
        .value_kind:     hidden_remainder_x
      - .offset:         132
        .size:           2
        .value_kind:     hidden_remainder_y
      - .offset:         134
        .size:           2
        .value_kind:     hidden_remainder_z
      - .offset:         152
        .size:           8
        .value_kind:     hidden_global_offset_x
      - .offset:         160
        .size:           8
        .value_kind:     hidden_global_offset_y
      - .offset:         168
        .size:           8
        .value_kind:     hidden_global_offset_z
      - .offset:         176
        .size:           2
        .value_kind:     hidden_grid_dims
    .group_segment_fixed_size: 0
    .kernarg_segment_align: 8
    .kernarg_segment_size: 368
    .language:       OpenCL C
    .language_version:
      - 2
      - 0
    .max_flat_workgroup_size: 1024
    .name:           _ZL9rope_neoxILb0ELb1Ef6__halfEvPKT1_PT2_iiiiiiiiiiPKifff14rope_corr_dimsfPKfPKli
    .private_segment_fixed_size: 0
    .sgpr_count:     22
    .sgpr_spill_count: 0
    .symbol:         _ZL9rope_neoxILb0ELb1Ef6__halfEvPKT1_PT2_iiiiiiiiiiPKifff14rope_corr_dimsfPKfPKli.kd
    .uniform_work_group_size: 1
    .uses_dynamic_stack: false
    .vgpr_count:     20
    .vgpr_spill_count: 0
    .wavefront_size: 64
  - .args:
      - .address_space:  global
        .offset:         0
        .size:           8
        .value_kind:     global_buffer
      - .address_space:  global
        .offset:         8
        .size:           8
        .value_kind:     global_buffer
      - .offset:         16
        .size:           4
        .value_kind:     by_value
      - .offset:         20
        .size:           4
        .value_kind:     by_value
      - .offset:         24
        .size:           4
        .value_kind:     by_value
      - .offset:         28
        .size:           4
        .value_kind:     by_value
      - .offset:         32
        .size:           4
        .value_kind:     by_value
      - .offset:         36
        .size:           4
        .value_kind:     by_value
      - .offset:         40
        .size:           4
        .value_kind:     by_value
      - .offset:         44
        .size:           4
        .value_kind:     by_value
      - .offset:         48
        .size:           4
        .value_kind:     by_value
      - .offset:         52
        .size:           4
        .value_kind:     by_value
      - .address_space:  global
        .offset:         56
        .size:           8
        .value_kind:     global_buffer
      - .offset:         64
        .size:           4
        .value_kind:     by_value
      - .offset:         68
        .size:           4
        .value_kind:     by_value
      - .offset:         72
        .size:           4
        .value_kind:     by_value
      - .offset:         76
        .size:           8
        .value_kind:     by_value
      - .offset:         84
        .size:           4
        .value_kind:     by_value
      - .address_space:  global
        .offset:         88
        .size:           8
        .value_kind:     global_buffer
      - .address_space:  global
        .offset:         96
        .size:           8
        .value_kind:     global_buffer
      - .offset:         104
        .size:           4
        .value_kind:     by_value
      - .offset:         112
        .size:           4
        .value_kind:     hidden_block_count_x
      - .offset:         116
        .size:           4
        .value_kind:     hidden_block_count_y
      - .offset:         120
        .size:           4
        .value_kind:     hidden_block_count_z
      - .offset:         124
        .size:           2
        .value_kind:     hidden_group_size_x
      - .offset:         126
        .size:           2
        .value_kind:     hidden_group_size_y
      - .offset:         128
        .size:           2
        .value_kind:     hidden_group_size_z
      - .offset:         130
        .size:           2
        .value_kind:     hidden_remainder_x
      - .offset:         132
        .size:           2
        .value_kind:     hidden_remainder_y
      - .offset:         134
        .size:           2
        .value_kind:     hidden_remainder_z
      - .offset:         152
        .size:           8
        .value_kind:     hidden_global_offset_x
      - .offset:         160
        .size:           8
        .value_kind:     hidden_global_offset_y
      - .offset:         168
        .size:           8
        .value_kind:     hidden_global_offset_z
      - .offset:         176
        .size:           2
        .value_kind:     hidden_grid_dims
    .group_segment_fixed_size: 0
    .kernarg_segment_align: 8
    .kernarg_segment_size: 368
    .language:       OpenCL C
    .language_version:
      - 2
      - 0
    .max_flat_workgroup_size: 1024
    .name:           _ZL9rope_neoxILb0ELb0E6__halfS0_EvPKT1_PT2_iiiiiiiiiiPKifff14rope_corr_dimsfPKfPKli
    .private_segment_fixed_size: 0
    .sgpr_count:     24
    .sgpr_spill_count: 0
    .symbol:         _ZL9rope_neoxILb0ELb0E6__halfS0_EvPKT1_PT2_iiiiiiiiiiPKifff14rope_corr_dimsfPKfPKli.kd
    .uniform_work_group_size: 1
    .uses_dynamic_stack: false
    .vgpr_count:     20
    .vgpr_spill_count: 0
    .wavefront_size: 64
  - .args:
      - .address_space:  global
        .offset:         0
        .size:           8
        .value_kind:     global_buffer
      - .address_space:  global
        .offset:         8
        .size:           8
        .value_kind:     global_buffer
      - .offset:         16
        .size:           4
        .value_kind:     by_value
      - .offset:         20
        .size:           4
        .value_kind:     by_value
      - .offset:         24
        .size:           4
        .value_kind:     by_value
      - .offset:         28
        .size:           4
        .value_kind:     by_value
      - .offset:         32
        .size:           4
        .value_kind:     by_value
      - .offset:         36
        .size:           4
        .value_kind:     by_value
      - .offset:         40
        .size:           4
        .value_kind:     by_value
      - .offset:         44
        .size:           4
        .value_kind:     by_value
      - .offset:         48
        .size:           4
        .value_kind:     by_value
      - .offset:         52
        .size:           4
        .value_kind:     by_value
      - .address_space:  global
        .offset:         56
        .size:           8
        .value_kind:     global_buffer
      - .offset:         64
        .size:           4
        .value_kind:     by_value
      - .offset:         68
        .size:           4
        .value_kind:     by_value
      - .offset:         72
        .size:           4
        .value_kind:     by_value
      - .offset:         76
        .size:           8
        .value_kind:     by_value
      - .offset:         84
        .size:           4
        .value_kind:     by_value
      - .address_space:  global
        .offset:         88
        .size:           8
        .value_kind:     global_buffer
      - .address_space:  global
        .offset:         96
        .size:           8
        .value_kind:     global_buffer
      - .offset:         104
        .size:           4
        .value_kind:     by_value
      - .offset:         112
        .size:           4
        .value_kind:     hidden_block_count_x
      - .offset:         116
        .size:           4
        .value_kind:     hidden_block_count_y
      - .offset:         120
        .size:           4
        .value_kind:     hidden_block_count_z
      - .offset:         124
        .size:           2
        .value_kind:     hidden_group_size_x
      - .offset:         126
        .size:           2
        .value_kind:     hidden_group_size_y
      - .offset:         128
        .size:           2
        .value_kind:     hidden_group_size_z
      - .offset:         130
        .size:           2
        .value_kind:     hidden_remainder_x
      - .offset:         132
        .size:           2
        .value_kind:     hidden_remainder_y
      - .offset:         134
        .size:           2
        .value_kind:     hidden_remainder_z
      - .offset:         152
        .size:           8
        .value_kind:     hidden_global_offset_x
      - .offset:         160
        .size:           8
        .value_kind:     hidden_global_offset_y
      - .offset:         168
        .size:           8
        .value_kind:     hidden_global_offset_z
      - .offset:         176
        .size:           2
        .value_kind:     hidden_grid_dims
    .group_segment_fixed_size: 0
    .kernarg_segment_align: 8
    .kernarg_segment_size: 368
    .language:       OpenCL C
    .language_version:
      - 2
      - 0
    .max_flat_workgroup_size: 1024
    .name:           _ZL9rope_neoxILb0ELb1E6__halfS0_EvPKT1_PT2_iiiiiiiiiiPKifff14rope_corr_dimsfPKfPKli
    .private_segment_fixed_size: 0
    .sgpr_count:     22
    .sgpr_spill_count: 0
    .symbol:         _ZL9rope_neoxILb0ELb1E6__halfS0_EvPKT1_PT2_iiiiiiiiiiPKifff14rope_corr_dimsfPKfPKli.kd
    .uniform_work_group_size: 1
    .uses_dynamic_stack: false
    .vgpr_count:     20
    .vgpr_spill_count: 0
    .wavefront_size: 64
  - .args:
      - .address_space:  global
        .offset:         0
        .size:           8
        .value_kind:     global_buffer
      - .address_space:  global
        .offset:         8
        .size:           8
        .value_kind:     global_buffer
      - .offset:         16
        .size:           4
        .value_kind:     by_value
      - .offset:         20
        .size:           4
        .value_kind:     by_value
      - .offset:         24
        .size:           4
        .value_kind:     by_value
      - .offset:         28
        .size:           4
        .value_kind:     by_value
      - .offset:         32
        .size:           4
        .value_kind:     by_value
      - .offset:         36
        .size:           4
        .value_kind:     by_value
      - .offset:         40
        .size:           4
        .value_kind:     by_value
      - .offset:         44
        .size:           4
        .value_kind:     by_value
      - .offset:         48
        .size:           4
        .value_kind:     by_value
      - .offset:         52
        .size:           4
        .value_kind:     by_value
      - .address_space:  global
        .offset:         56
        .size:           8
        .value_kind:     global_buffer
      - .offset:         64
        .size:           4
        .value_kind:     by_value
      - .offset:         68
        .size:           4
        .value_kind:     by_value
      - .offset:         72
        .size:           4
        .value_kind:     by_value
      - .offset:         76
        .size:           8
        .value_kind:     by_value
      - .offset:         84
        .size:           4
        .value_kind:     by_value
      - .address_space:  global
        .offset:         88
        .size:           8
        .value_kind:     global_buffer
      - .offset:         96
        .size:           16
        .value_kind:     by_value
      - .offset:         112
        .size:           1
        .value_kind:     by_value
      - .offset:         120
        .size:           4
        .value_kind:     hidden_block_count_x
      - .offset:         124
        .size:           4
        .value_kind:     hidden_block_count_y
      - .offset:         128
        .size:           4
        .value_kind:     hidden_block_count_z
      - .offset:         132
        .size:           2
        .value_kind:     hidden_group_size_x
      - .offset:         134
        .size:           2
        .value_kind:     hidden_group_size_y
      - .offset:         136
        .size:           2
        .value_kind:     hidden_group_size_z
      - .offset:         138
        .size:           2
        .value_kind:     hidden_remainder_x
      - .offset:         140
        .size:           2
        .value_kind:     hidden_remainder_y
      - .offset:         142
        .size:           2
        .value_kind:     hidden_remainder_z
      - .offset:         160
        .size:           8
        .value_kind:     hidden_global_offset_x
      - .offset:         168
        .size:           8
        .value_kind:     hidden_global_offset_y
      - .offset:         176
        .size:           8
        .value_kind:     hidden_global_offset_z
      - .offset:         184
        .size:           2
        .value_kind:     hidden_grid_dims
    .group_segment_fixed_size: 0
    .kernarg_segment_align: 8
    .kernarg_segment_size: 376
    .language:       OpenCL C
    .language_version:
      - 2
      - 0
    .max_flat_workgroup_size: 1024
    .name:           _ZL10rope_multiILb0ELb0EfEvPKT1_PS0_iiiiiiiiiiPKifff14rope_corr_dimsfPKf14mrope_sectionsb
    .private_segment_fixed_size: 0
    .sgpr_count:     36
    .sgpr_spill_count: 0
    .symbol:         _ZL10rope_multiILb0ELb0EfEvPKT1_PS0_iiiiiiiiiiPKifff14rope_corr_dimsfPKf14mrope_sectionsb.kd
    .uniform_work_group_size: 1
    .uses_dynamic_stack: false
    .vgpr_count:     20
    .vgpr_spill_count: 0
    .wavefront_size: 64
  - .args:
      - .address_space:  global
        .offset:         0
        .size:           8
        .value_kind:     global_buffer
      - .address_space:  global
        .offset:         8
        .size:           8
        .value_kind:     global_buffer
      - .offset:         16
        .size:           4
        .value_kind:     by_value
      - .offset:         20
        .size:           4
        .value_kind:     by_value
      - .offset:         24
        .size:           4
        .value_kind:     by_value
      - .offset:         28
        .size:           4
        .value_kind:     by_value
      - .offset:         32
        .size:           4
        .value_kind:     by_value
      - .offset:         36
        .size:           4
        .value_kind:     by_value
      - .offset:         40
        .size:           4
        .value_kind:     by_value
      - .offset:         44
        .size:           4
        .value_kind:     by_value
      - .offset:         48
        .size:           4
        .value_kind:     by_value
      - .offset:         52
        .size:           4
        .value_kind:     by_value
      - .address_space:  global
        .offset:         56
        .size:           8
        .value_kind:     global_buffer
      - .offset:         64
        .size:           4
        .value_kind:     by_value
      - .offset:         68
        .size:           4
        .value_kind:     by_value
      - .offset:         72
        .size:           4
        .value_kind:     by_value
      - .offset:         76
        .size:           8
        .value_kind:     by_value
      - .offset:         84
        .size:           4
        .value_kind:     by_value
      - .address_space:  global
        .offset:         88
        .size:           8
        .value_kind:     global_buffer
      - .offset:         96
        .size:           16
        .value_kind:     by_value
      - .offset:         112
        .size:           1
        .value_kind:     by_value
      - .offset:         120
        .size:           4
        .value_kind:     hidden_block_count_x
      - .offset:         124
        .size:           4
        .value_kind:     hidden_block_count_y
      - .offset:         128
        .size:           4
        .value_kind:     hidden_block_count_z
      - .offset:         132
        .size:           2
        .value_kind:     hidden_group_size_x
      - .offset:         134
        .size:           2
        .value_kind:     hidden_group_size_y
      - .offset:         136
        .size:           2
        .value_kind:     hidden_group_size_z
      - .offset:         138
        .size:           2
        .value_kind:     hidden_remainder_x
      - .offset:         140
        .size:           2
        .value_kind:     hidden_remainder_y
      - .offset:         142
        .size:           2
        .value_kind:     hidden_remainder_z
      - .offset:         160
        .size:           8
        .value_kind:     hidden_global_offset_x
      - .offset:         168
        .size:           8
        .value_kind:     hidden_global_offset_y
      - .offset:         176
        .size:           8
        .value_kind:     hidden_global_offset_z
      - .offset:         184
        .size:           2
        .value_kind:     hidden_grid_dims
    .group_segment_fixed_size: 0
    .kernarg_segment_align: 8
    .kernarg_segment_size: 376
    .language:       OpenCL C
    .language_version:
      - 2
      - 0
    .max_flat_workgroup_size: 1024
    .name:           _ZL10rope_multiILb0ELb1EfEvPKT1_PS0_iiiiiiiiiiPKifff14rope_corr_dimsfPKf14mrope_sectionsb
    .private_segment_fixed_size: 0
    .sgpr_count:     40
    .sgpr_spill_count: 0
    .symbol:         _ZL10rope_multiILb0ELb1EfEvPKT1_PS0_iiiiiiiiiiPKifff14rope_corr_dimsfPKf14mrope_sectionsb.kd
    .uniform_work_group_size: 1
    .uses_dynamic_stack: false
    .vgpr_count:     21
    .vgpr_spill_count: 0
    .wavefront_size: 64
  - .args:
      - .address_space:  global
        .offset:         0
        .size:           8
        .value_kind:     global_buffer
      - .address_space:  global
        .offset:         8
        .size:           8
        .value_kind:     global_buffer
      - .offset:         16
        .size:           4
        .value_kind:     by_value
      - .offset:         20
        .size:           4
        .value_kind:     by_value
      - .offset:         24
        .size:           4
        .value_kind:     by_value
      - .offset:         28
        .size:           4
        .value_kind:     by_value
      - .offset:         32
        .size:           4
        .value_kind:     by_value
      - .offset:         36
        .size:           4
        .value_kind:     by_value
      - .offset:         40
        .size:           4
        .value_kind:     by_value
      - .offset:         44
        .size:           4
        .value_kind:     by_value
      - .offset:         48
        .size:           4
        .value_kind:     by_value
      - .offset:         52
        .size:           4
        .value_kind:     by_value
      - .address_space:  global
        .offset:         56
        .size:           8
        .value_kind:     global_buffer
      - .offset:         64
        .size:           4
        .value_kind:     by_value
      - .offset:         68
        .size:           4
        .value_kind:     by_value
      - .offset:         72
        .size:           4
        .value_kind:     by_value
      - .offset:         76
        .size:           8
        .value_kind:     by_value
      - .offset:         84
        .size:           4
        .value_kind:     by_value
      - .address_space:  global
        .offset:         88
        .size:           8
        .value_kind:     global_buffer
      - .offset:         96
        .size:           16
        .value_kind:     by_value
      - .offset:         112
        .size:           1
        .value_kind:     by_value
      - .offset:         120
        .size:           4
        .value_kind:     hidden_block_count_x
      - .offset:         124
        .size:           4
        .value_kind:     hidden_block_count_y
      - .offset:         128
        .size:           4
        .value_kind:     hidden_block_count_z
      - .offset:         132
        .size:           2
        .value_kind:     hidden_group_size_x
      - .offset:         134
        .size:           2
        .value_kind:     hidden_group_size_y
      - .offset:         136
        .size:           2
        .value_kind:     hidden_group_size_z
      - .offset:         138
        .size:           2
        .value_kind:     hidden_remainder_x
      - .offset:         140
        .size:           2
        .value_kind:     hidden_remainder_y
      - .offset:         142
        .size:           2
        .value_kind:     hidden_remainder_z
      - .offset:         160
        .size:           8
        .value_kind:     hidden_global_offset_x
      - .offset:         168
        .size:           8
        .value_kind:     hidden_global_offset_y
      - .offset:         176
        .size:           8
        .value_kind:     hidden_global_offset_z
      - .offset:         184
        .size:           2
        .value_kind:     hidden_grid_dims
    .group_segment_fixed_size: 0
    .kernarg_segment_align: 8
    .kernarg_segment_size: 376
    .language:       OpenCL C
    .language_version:
      - 2
      - 0
    .max_flat_workgroup_size: 1024
    .name:           _ZL10rope_multiILb0ELb0E6__halfEvPKT1_PS1_iiiiiiiiiiPKifff14rope_corr_dimsfPKf14mrope_sectionsb
    .private_segment_fixed_size: 0
    .sgpr_count:     36
    .sgpr_spill_count: 0
    .symbol:         _ZL10rope_multiILb0ELb0E6__halfEvPKT1_PS1_iiiiiiiiiiPKifff14rope_corr_dimsfPKf14mrope_sectionsb.kd
    .uniform_work_group_size: 1
    .uses_dynamic_stack: false
    .vgpr_count:     20
    .vgpr_spill_count: 0
    .wavefront_size: 64
  - .args:
      - .address_space:  global
        .offset:         0
        .size:           8
        .value_kind:     global_buffer
      - .address_space:  global
        .offset:         8
        .size:           8
        .value_kind:     global_buffer
      - .offset:         16
        .size:           4
        .value_kind:     by_value
      - .offset:         20
        .size:           4
        .value_kind:     by_value
      - .offset:         24
        .size:           4
        .value_kind:     by_value
      - .offset:         28
        .size:           4
        .value_kind:     by_value
      - .offset:         32
        .size:           4
        .value_kind:     by_value
      - .offset:         36
        .size:           4
        .value_kind:     by_value
      - .offset:         40
        .size:           4
        .value_kind:     by_value
      - .offset:         44
        .size:           4
        .value_kind:     by_value
      - .offset:         48
        .size:           4
        .value_kind:     by_value
      - .offset:         52
        .size:           4
        .value_kind:     by_value
      - .address_space:  global
        .offset:         56
        .size:           8
        .value_kind:     global_buffer
      - .offset:         64
        .size:           4
        .value_kind:     by_value
      - .offset:         68
        .size:           4
        .value_kind:     by_value
      - .offset:         72
        .size:           4
        .value_kind:     by_value
      - .offset:         76
        .size:           8
        .value_kind:     by_value
      - .offset:         84
        .size:           4
        .value_kind:     by_value
      - .address_space:  global
        .offset:         88
        .size:           8
        .value_kind:     global_buffer
      - .offset:         96
        .size:           16
        .value_kind:     by_value
      - .offset:         112
        .size:           1
        .value_kind:     by_value
      - .offset:         120
        .size:           4
        .value_kind:     hidden_block_count_x
      - .offset:         124
        .size:           4
        .value_kind:     hidden_block_count_y
      - .offset:         128
        .size:           4
        .value_kind:     hidden_block_count_z
      - .offset:         132
        .size:           2
        .value_kind:     hidden_group_size_x
      - .offset:         134
        .size:           2
        .value_kind:     hidden_group_size_y
      - .offset:         136
        .size:           2
        .value_kind:     hidden_group_size_z
      - .offset:         138
        .size:           2
        .value_kind:     hidden_remainder_x
      - .offset:         140
        .size:           2
        .value_kind:     hidden_remainder_y
      - .offset:         142
        .size:           2
        .value_kind:     hidden_remainder_z
      - .offset:         160
        .size:           8
        .value_kind:     hidden_global_offset_x
      - .offset:         168
        .size:           8
        .value_kind:     hidden_global_offset_y
      - .offset:         176
        .size:           8
        .value_kind:     hidden_global_offset_z
      - .offset:         184
        .size:           2
        .value_kind:     hidden_grid_dims
    .group_segment_fixed_size: 0
    .kernarg_segment_align: 8
    .kernarg_segment_size: 376
    .language:       OpenCL C
    .language_version:
      - 2
      - 0
    .max_flat_workgroup_size: 1024
    .name:           _ZL10rope_multiILb0ELb1E6__halfEvPKT1_PS1_iiiiiiiiiiPKifff14rope_corr_dimsfPKf14mrope_sectionsb
    .private_segment_fixed_size: 0
    .sgpr_count:     40
    .sgpr_spill_count: 0
    .symbol:         _ZL10rope_multiILb0ELb1E6__halfEvPKT1_PS1_iiiiiiiiiiPKifff14rope_corr_dimsfPKf14mrope_sectionsb.kd
    .uniform_work_group_size: 1
    .uses_dynamic_stack: false
    .vgpr_count:     21
    .vgpr_spill_count: 0
    .wavefront_size: 64
  - .args:
      - .address_space:  global
        .offset:         0
        .size:           8
        .value_kind:     global_buffer
      - .address_space:  global
        .offset:         8
        .size:           8
        .value_kind:     global_buffer
      - .offset:         16
        .size:           4
        .value_kind:     by_value
      - .offset:         20
        .size:           4
        .value_kind:     by_value
      - .offset:         24
        .size:           4
        .value_kind:     by_value
      - .offset:         28
        .size:           4
        .value_kind:     by_value
      - .offset:         32
        .size:           4
        .value_kind:     by_value
      - .offset:         36
        .size:           4
        .value_kind:     by_value
      - .offset:         40
        .size:           4
        .value_kind:     by_value
      - .offset:         44
        .size:           4
        .value_kind:     by_value
      - .offset:         48
        .size:           4
        .value_kind:     by_value
      - .offset:         52
        .size:           4
        .value_kind:     by_value
      - .address_space:  global
        .offset:         56
        .size:           8
        .value_kind:     global_buffer
      - .offset:         64
        .size:           4
        .value_kind:     by_value
      - .offset:         68
        .size:           4
        .value_kind:     by_value
      - .offset:         72
        .size:           4
        .value_kind:     by_value
      - .offset:         76
        .size:           8
        .value_kind:     by_value
      - .offset:         84
        .size:           4
        .value_kind:     by_value
      - .address_space:  global
        .offset:         88
        .size:           8
        .value_kind:     global_buffer
      - .offset:         96
        .size:           16
        .value_kind:     by_value
      - .offset:         112
        .size:           4
        .value_kind:     hidden_block_count_x
      - .offset:         116
        .size:           4
        .value_kind:     hidden_block_count_y
      - .offset:         120
        .size:           4
        .value_kind:     hidden_block_count_z
      - .offset:         124
        .size:           2
        .value_kind:     hidden_group_size_x
      - .offset:         126
        .size:           2
        .value_kind:     hidden_group_size_y
      - .offset:         128
        .size:           2
        .value_kind:     hidden_group_size_z
      - .offset:         130
        .size:           2
        .value_kind:     hidden_remainder_x
      - .offset:         132
        .size:           2
        .value_kind:     hidden_remainder_y
      - .offset:         134
        .size:           2
        .value_kind:     hidden_remainder_z
      - .offset:         152
        .size:           8
        .value_kind:     hidden_global_offset_x
      - .offset:         160
        .size:           8
        .value_kind:     hidden_global_offset_y
      - .offset:         168
        .size:           8
        .value_kind:     hidden_global_offset_z
      - .offset:         176
        .size:           2
        .value_kind:     hidden_grid_dims
    .group_segment_fixed_size: 0
    .kernarg_segment_align: 8
    .kernarg_segment_size: 368
    .language:       OpenCL C
    .language_version:
      - 2
      - 0
    .max_flat_workgroup_size: 1024
    .name:           _ZL11rope_visionILb0ELb0EfEvPKT1_PS0_iiiiiiiiiiPKifff14rope_corr_dimsfPKf14mrope_sections
    .private_segment_fixed_size: 0
    .sgpr_count:     30
    .sgpr_spill_count: 0
    .symbol:         _ZL11rope_visionILb0ELb0EfEvPKT1_PS0_iiiiiiiiiiPKifff14rope_corr_dimsfPKf14mrope_sections.kd
    .uniform_work_group_size: 1
    .uses_dynamic_stack: false
    .vgpr_count:     21
    .vgpr_spill_count: 0
    .wavefront_size: 64
  - .args:
      - .address_space:  global
        .offset:         0
        .size:           8
        .value_kind:     global_buffer
      - .address_space:  global
        .offset:         8
        .size:           8
        .value_kind:     global_buffer
      - .offset:         16
        .size:           4
        .value_kind:     by_value
      - .offset:         20
        .size:           4
        .value_kind:     by_value
      - .offset:         24
        .size:           4
        .value_kind:     by_value
      - .offset:         28
        .size:           4
        .value_kind:     by_value
      - .offset:         32
        .size:           4
        .value_kind:     by_value
      - .offset:         36
        .size:           4
        .value_kind:     by_value
      - .offset:         40
        .size:           4
        .value_kind:     by_value
      - .offset:         44
        .size:           4
        .value_kind:     by_value
      - .offset:         48
        .size:           4
        .value_kind:     by_value
      - .offset:         52
        .size:           4
        .value_kind:     by_value
      - .address_space:  global
        .offset:         56
        .size:           8
        .value_kind:     global_buffer
      - .offset:         64
        .size:           4
        .value_kind:     by_value
      - .offset:         68
        .size:           4
        .value_kind:     by_value
      - .offset:         72
        .size:           4
        .value_kind:     by_value
      - .offset:         76
        .size:           8
        .value_kind:     by_value
      - .offset:         84
        .size:           4
        .value_kind:     by_value
      - .address_space:  global
        .offset:         88
        .size:           8
        .value_kind:     global_buffer
      - .offset:         96
        .size:           16
        .value_kind:     by_value
      - .offset:         112
        .size:           4
        .value_kind:     hidden_block_count_x
      - .offset:         116
        .size:           4
        .value_kind:     hidden_block_count_y
      - .offset:         120
        .size:           4
        .value_kind:     hidden_block_count_z
      - .offset:         124
        .size:           2
        .value_kind:     hidden_group_size_x
      - .offset:         126
        .size:           2
        .value_kind:     hidden_group_size_y
      - .offset:         128
        .size:           2
        .value_kind:     hidden_group_size_z
      - .offset:         130
        .size:           2
        .value_kind:     hidden_remainder_x
      - .offset:         132
        .size:           2
        .value_kind:     hidden_remainder_y
      - .offset:         134
        .size:           2
        .value_kind:     hidden_remainder_z
      - .offset:         152
        .size:           8
        .value_kind:     hidden_global_offset_x
      - .offset:         160
        .size:           8
        .value_kind:     hidden_global_offset_y
      - .offset:         168
        .size:           8
        .value_kind:     hidden_global_offset_z
      - .offset:         176
        .size:           2
        .value_kind:     hidden_grid_dims
    .group_segment_fixed_size: 0
    .kernarg_segment_align: 8
    .kernarg_segment_size: 368
    .language:       OpenCL C
    .language_version:
      - 2
      - 0
    .max_flat_workgroup_size: 1024
    .name:           _ZL11rope_visionILb0ELb1EfEvPKT1_PS0_iiiiiiiiiiPKifff14rope_corr_dimsfPKf14mrope_sections
    .private_segment_fixed_size: 0
    .sgpr_count:     30
    .sgpr_spill_count: 0
    .symbol:         _ZL11rope_visionILb0ELb1EfEvPKT1_PS0_iiiiiiiiiiPKifff14rope_corr_dimsfPKf14mrope_sections.kd
    .uniform_work_group_size: 1
    .uses_dynamic_stack: false
    .vgpr_count:     21
    .vgpr_spill_count: 0
    .wavefront_size: 64
  - .args:
      - .address_space:  global
        .offset:         0
        .size:           8
        .value_kind:     global_buffer
      - .address_space:  global
        .offset:         8
        .size:           8
        .value_kind:     global_buffer
      - .offset:         16
        .size:           4
        .value_kind:     by_value
      - .offset:         20
        .size:           4
        .value_kind:     by_value
      - .offset:         24
        .size:           4
        .value_kind:     by_value
      - .offset:         28
        .size:           4
        .value_kind:     by_value
      - .offset:         32
        .size:           4
        .value_kind:     by_value
      - .offset:         36
        .size:           4
        .value_kind:     by_value
      - .offset:         40
        .size:           4
        .value_kind:     by_value
      - .offset:         44
        .size:           4
        .value_kind:     by_value
      - .offset:         48
        .size:           4
        .value_kind:     by_value
      - .offset:         52
        .size:           4
        .value_kind:     by_value
      - .address_space:  global
        .offset:         56
        .size:           8
        .value_kind:     global_buffer
      - .offset:         64
        .size:           4
        .value_kind:     by_value
      - .offset:         68
        .size:           4
        .value_kind:     by_value
      - .offset:         72
        .size:           4
        .value_kind:     by_value
      - .offset:         76
        .size:           8
        .value_kind:     by_value
      - .offset:         84
        .size:           4
        .value_kind:     by_value
      - .address_space:  global
        .offset:         88
        .size:           8
        .value_kind:     global_buffer
      - .offset:         96
        .size:           16
        .value_kind:     by_value
      - .offset:         112
        .size:           4
        .value_kind:     hidden_block_count_x
      - .offset:         116
        .size:           4
        .value_kind:     hidden_block_count_y
      - .offset:         120
        .size:           4
        .value_kind:     hidden_block_count_z
      - .offset:         124
        .size:           2
        .value_kind:     hidden_group_size_x
      - .offset:         126
        .size:           2
        .value_kind:     hidden_group_size_y
      - .offset:         128
        .size:           2
        .value_kind:     hidden_group_size_z
      - .offset:         130
        .size:           2
        .value_kind:     hidden_remainder_x
      - .offset:         132
        .size:           2
        .value_kind:     hidden_remainder_y
      - .offset:         134
        .size:           2
        .value_kind:     hidden_remainder_z
      - .offset:         152
        .size:           8
        .value_kind:     hidden_global_offset_x
      - .offset:         160
        .size:           8
        .value_kind:     hidden_global_offset_y
      - .offset:         168
        .size:           8
        .value_kind:     hidden_global_offset_z
      - .offset:         176
        .size:           2
        .value_kind:     hidden_grid_dims
    .group_segment_fixed_size: 0
    .kernarg_segment_align: 8
    .kernarg_segment_size: 368
    .language:       OpenCL C
    .language_version:
      - 2
      - 0
    .max_flat_workgroup_size: 1024
    .name:           _ZL11rope_visionILb0ELb0E6__halfEvPKT1_PS1_iiiiiiiiiiPKifff14rope_corr_dimsfPKf14mrope_sections
    .private_segment_fixed_size: 0
    .sgpr_count:     30
    .sgpr_spill_count: 0
    .symbol:         _ZL11rope_visionILb0ELb0E6__halfEvPKT1_PS1_iiiiiiiiiiPKifff14rope_corr_dimsfPKf14mrope_sections.kd
    .uniform_work_group_size: 1
    .uses_dynamic_stack: false
    .vgpr_count:     21
    .vgpr_spill_count: 0
    .wavefront_size: 64
  - .args:
      - .address_space:  global
        .offset:         0
        .size:           8
        .value_kind:     global_buffer
      - .address_space:  global
        .offset:         8
        .size:           8
        .value_kind:     global_buffer
      - .offset:         16
        .size:           4
        .value_kind:     by_value
      - .offset:         20
        .size:           4
        .value_kind:     by_value
      - .offset:         24
        .size:           4
        .value_kind:     by_value
      - .offset:         28
        .size:           4
        .value_kind:     by_value
      - .offset:         32
        .size:           4
        .value_kind:     by_value
      - .offset:         36
        .size:           4
        .value_kind:     by_value
      - .offset:         40
        .size:           4
        .value_kind:     by_value
      - .offset:         44
        .size:           4
        .value_kind:     by_value
      - .offset:         48
        .size:           4
        .value_kind:     by_value
      - .offset:         52
        .size:           4
        .value_kind:     by_value
      - .address_space:  global
        .offset:         56
        .size:           8
        .value_kind:     global_buffer
      - .offset:         64
        .size:           4
        .value_kind:     by_value
      - .offset:         68
        .size:           4
        .value_kind:     by_value
      - .offset:         72
        .size:           4
        .value_kind:     by_value
      - .offset:         76
        .size:           8
        .value_kind:     by_value
      - .offset:         84
        .size:           4
        .value_kind:     by_value
      - .address_space:  global
        .offset:         88
        .size:           8
        .value_kind:     global_buffer
      - .offset:         96
        .size:           16
        .value_kind:     by_value
      - .offset:         112
        .size:           4
        .value_kind:     hidden_block_count_x
      - .offset:         116
        .size:           4
        .value_kind:     hidden_block_count_y
      - .offset:         120
        .size:           4
        .value_kind:     hidden_block_count_z
      - .offset:         124
        .size:           2
        .value_kind:     hidden_group_size_x
      - .offset:         126
        .size:           2
        .value_kind:     hidden_group_size_y
      - .offset:         128
        .size:           2
        .value_kind:     hidden_group_size_z
      - .offset:         130
        .size:           2
        .value_kind:     hidden_remainder_x
      - .offset:         132
        .size:           2
        .value_kind:     hidden_remainder_y
      - .offset:         134
        .size:           2
        .value_kind:     hidden_remainder_z
      - .offset:         152
        .size:           8
        .value_kind:     hidden_global_offset_x
      - .offset:         160
        .size:           8
        .value_kind:     hidden_global_offset_y
      - .offset:         168
        .size:           8
        .value_kind:     hidden_global_offset_z
      - .offset:         176
        .size:           2
        .value_kind:     hidden_grid_dims
    .group_segment_fixed_size: 0
    .kernarg_segment_align: 8
    .kernarg_segment_size: 368
    .language:       OpenCL C
    .language_version:
      - 2
      - 0
    .max_flat_workgroup_size: 1024
    .name:           _ZL11rope_visionILb0ELb1E6__halfEvPKT1_PS1_iiiiiiiiiiPKifff14rope_corr_dimsfPKf14mrope_sections
    .private_segment_fixed_size: 0
    .sgpr_count:     30
    .sgpr_spill_count: 0
    .symbol:         _ZL11rope_visionILb0ELb1E6__halfEvPKT1_PS1_iiiiiiiiiiPKifff14rope_corr_dimsfPKf14mrope_sections.kd
    .uniform_work_group_size: 1
    .uses_dynamic_stack: false
    .vgpr_count:     21
    .vgpr_spill_count: 0
    .wavefront_size: 64
  - .args:
      - .address_space:  global
        .offset:         0
        .size:           8
        .value_kind:     global_buffer
      - .address_space:  global
        .offset:         8
        .size:           8
        .value_kind:     global_buffer
      - .offset:         16
        .size:           4
        .value_kind:     by_value
      - .offset:         20
        .size:           4
        .value_kind:     by_value
      - .offset:         24
        .size:           4
        .value_kind:     by_value
      - .offset:         28
        .size:           4
        .value_kind:     by_value
      - .offset:         32
        .size:           4
        .value_kind:     by_value
      - .offset:         36
        .size:           4
        .value_kind:     by_value
      - .offset:         40
        .size:           4
        .value_kind:     by_value
      - .offset:         44
        .size:           4
        .value_kind:     by_value
      - .offset:         48
        .size:           4
        .value_kind:     by_value
      - .offset:         52
        .size:           4
        .value_kind:     by_value
      - .address_space:  global
        .offset:         56
        .size:           8
        .value_kind:     global_buffer
      - .offset:         64
        .size:           4
        .value_kind:     by_value
      - .offset:         68
        .size:           4
        .value_kind:     by_value
      - .offset:         72
        .size:           4
        .value_kind:     by_value
      - .offset:         76
        .size:           8
        .value_kind:     by_value
      - .offset:         84
        .size:           4
        .value_kind:     by_value
      - .address_space:  global
        .offset:         88
        .size:           8
        .value_kind:     global_buffer
      - .address_space:  global
        .offset:         96
        .size:           8
        .value_kind:     global_buffer
      - .offset:         104
        .size:           4
        .value_kind:     by_value
      - .offset:         112
        .size:           4
        .value_kind:     hidden_block_count_x
      - .offset:         116
        .size:           4
        .value_kind:     hidden_block_count_y
      - .offset:         120
        .size:           4
        .value_kind:     hidden_block_count_z
      - .offset:         124
        .size:           2
        .value_kind:     hidden_group_size_x
      - .offset:         126
        .size:           2
        .value_kind:     hidden_group_size_y
      - .offset:         128
        .size:           2
        .value_kind:     hidden_group_size_z
      - .offset:         130
        .size:           2
        .value_kind:     hidden_remainder_x
      - .offset:         132
        .size:           2
        .value_kind:     hidden_remainder_y
      - .offset:         134
        .size:           2
        .value_kind:     hidden_remainder_z
      - .offset:         152
        .size:           8
        .value_kind:     hidden_global_offset_x
      - .offset:         160
        .size:           8
        .value_kind:     hidden_global_offset_y
      - .offset:         168
        .size:           8
        .value_kind:     hidden_global_offset_z
      - .offset:         176
        .size:           2
        .value_kind:     hidden_grid_dims
    .group_segment_fixed_size: 0
    .kernarg_segment_align: 8
    .kernarg_segment_size: 368
    .language:       OpenCL C
    .language_version:
      - 2
      - 0
    .max_flat_workgroup_size: 1024
    .name:           _ZL9rope_normILb0ELb0EffEvPKT1_PT2_iiiiiiiiiiPKifff14rope_corr_dimsfPKfPKli
    .private_segment_fixed_size: 0
    .sgpr_count:     22
    .sgpr_spill_count: 0
    .symbol:         _ZL9rope_normILb0ELb0EffEvPKT1_PT2_iiiiiiiiiiPKifff14rope_corr_dimsfPKfPKli.kd
    .uniform_work_group_size: 1
    .uses_dynamic_stack: false
    .vgpr_count:     21
    .vgpr_spill_count: 0
    .wavefront_size: 64
  - .args:
      - .address_space:  global
        .offset:         0
        .size:           8
        .value_kind:     global_buffer
      - .address_space:  global
        .offset:         8
        .size:           8
        .value_kind:     global_buffer
      - .offset:         16
        .size:           4
        .value_kind:     by_value
      - .offset:         20
        .size:           4
        .value_kind:     by_value
      - .offset:         24
        .size:           4
        .value_kind:     by_value
      - .offset:         28
        .size:           4
        .value_kind:     by_value
      - .offset:         32
        .size:           4
        .value_kind:     by_value
      - .offset:         36
        .size:           4
        .value_kind:     by_value
      - .offset:         40
        .size:           4
        .value_kind:     by_value
      - .offset:         44
        .size:           4
        .value_kind:     by_value
      - .offset:         48
        .size:           4
        .value_kind:     by_value
      - .offset:         52
        .size:           4
        .value_kind:     by_value
      - .address_space:  global
        .offset:         56
        .size:           8
        .value_kind:     global_buffer
      - .offset:         64
        .size:           4
        .value_kind:     by_value
      - .offset:         68
        .size:           4
        .value_kind:     by_value
      - .offset:         72
        .size:           4
        .value_kind:     by_value
      - .offset:         76
        .size:           8
        .value_kind:     by_value
      - .offset:         84
        .size:           4
        .value_kind:     by_value
      - .address_space:  global
        .offset:         88
        .size:           8
        .value_kind:     global_buffer
      - .address_space:  global
        .offset:         96
        .size:           8
        .value_kind:     global_buffer
      - .offset:         104
        .size:           4
        .value_kind:     by_value
      - .offset:         112
        .size:           4
        .value_kind:     hidden_block_count_x
      - .offset:         116
        .size:           4
        .value_kind:     hidden_block_count_y
      - .offset:         120
        .size:           4
        .value_kind:     hidden_block_count_z
      - .offset:         124
        .size:           2
        .value_kind:     hidden_group_size_x
      - .offset:         126
        .size:           2
        .value_kind:     hidden_group_size_y
      - .offset:         128
        .size:           2
        .value_kind:     hidden_group_size_z
      - .offset:         130
        .size:           2
        .value_kind:     hidden_remainder_x
      - .offset:         132
        .size:           2
        .value_kind:     hidden_remainder_y
      - .offset:         134
        .size:           2
        .value_kind:     hidden_remainder_z
      - .offset:         152
        .size:           8
        .value_kind:     hidden_global_offset_x
      - .offset:         160
        .size:           8
        .value_kind:     hidden_global_offset_y
      - .offset:         168
        .size:           8
        .value_kind:     hidden_global_offset_z
      - .offset:         176
        .size:           2
        .value_kind:     hidden_grid_dims
    .group_segment_fixed_size: 0
    .kernarg_segment_align: 8
    .kernarg_segment_size: 368
    .language:       OpenCL C
    .language_version:
      - 2
      - 0
    .max_flat_workgroup_size: 1024
    .name:           _ZL9rope_normILb0ELb1EffEvPKT1_PT2_iiiiiiiiiiPKifff14rope_corr_dimsfPKfPKli
    .private_segment_fixed_size: 0
    .sgpr_count:     20
    .sgpr_spill_count: 0
    .symbol:         _ZL9rope_normILb0ELb1EffEvPKT1_PT2_iiiiiiiiiiPKifff14rope_corr_dimsfPKfPKli.kd
    .uniform_work_group_size: 1
    .uses_dynamic_stack: false
    .vgpr_count:     21
    .vgpr_spill_count: 0
    .wavefront_size: 64
  - .args:
      - .address_space:  global
        .offset:         0
        .size:           8
        .value_kind:     global_buffer
      - .address_space:  global
        .offset:         8
        .size:           8
        .value_kind:     global_buffer
      - .offset:         16
        .size:           4
        .value_kind:     by_value
      - .offset:         20
        .size:           4
        .value_kind:     by_value
      - .offset:         24
        .size:           4
        .value_kind:     by_value
      - .offset:         28
        .size:           4
        .value_kind:     by_value
      - .offset:         32
        .size:           4
        .value_kind:     by_value
      - .offset:         36
        .size:           4
        .value_kind:     by_value
      - .offset:         40
        .size:           4
        .value_kind:     by_value
      - .offset:         44
        .size:           4
        .value_kind:     by_value
      - .offset:         48
        .size:           4
        .value_kind:     by_value
      - .offset:         52
        .size:           4
        .value_kind:     by_value
      - .address_space:  global
        .offset:         56
        .size:           8
        .value_kind:     global_buffer
      - .offset:         64
        .size:           4
        .value_kind:     by_value
      - .offset:         68
        .size:           4
        .value_kind:     by_value
      - .offset:         72
        .size:           4
        .value_kind:     by_value
      - .offset:         76
        .size:           8
        .value_kind:     by_value
      - .offset:         84
        .size:           4
        .value_kind:     by_value
      - .address_space:  global
        .offset:         88
        .size:           8
        .value_kind:     global_buffer
      - .address_space:  global
        .offset:         96
        .size:           8
        .value_kind:     global_buffer
      - .offset:         104
        .size:           4
        .value_kind:     by_value
      - .offset:         112
        .size:           4
        .value_kind:     hidden_block_count_x
      - .offset:         116
        .size:           4
        .value_kind:     hidden_block_count_y
      - .offset:         120
        .size:           4
        .value_kind:     hidden_block_count_z
      - .offset:         124
        .size:           2
        .value_kind:     hidden_group_size_x
      - .offset:         126
        .size:           2
        .value_kind:     hidden_group_size_y
      - .offset:         128
        .size:           2
        .value_kind:     hidden_group_size_z
      - .offset:         130
        .size:           2
        .value_kind:     hidden_remainder_x
      - .offset:         132
        .size:           2
        .value_kind:     hidden_remainder_y
      - .offset:         134
        .size:           2
        .value_kind:     hidden_remainder_z
      - .offset:         152
        .size:           8
        .value_kind:     hidden_global_offset_x
      - .offset:         160
        .size:           8
        .value_kind:     hidden_global_offset_y
      - .offset:         168
        .size:           8
        .value_kind:     hidden_global_offset_z
      - .offset:         176
        .size:           2
        .value_kind:     hidden_grid_dims
    .group_segment_fixed_size: 0
    .kernarg_segment_align: 8
    .kernarg_segment_size: 368
    .language:       OpenCL C
    .language_version:
      - 2
      - 0
    .max_flat_workgroup_size: 1024
    .name:           _ZL9rope_normILb0ELb0Ef6__halfEvPKT1_PT2_iiiiiiiiiiPKifff14rope_corr_dimsfPKfPKli
    .private_segment_fixed_size: 0
    .sgpr_count:     26
    .sgpr_spill_count: 0
    .symbol:         _ZL9rope_normILb0ELb0Ef6__halfEvPKT1_PT2_iiiiiiiiiiPKifff14rope_corr_dimsfPKfPKli.kd
    .uniform_work_group_size: 1
    .uses_dynamic_stack: false
    .vgpr_count:     23
    .vgpr_spill_count: 0
    .wavefront_size: 64
  - .args:
      - .address_space:  global
        .offset:         0
        .size:           8
        .value_kind:     global_buffer
      - .address_space:  global
        .offset:         8
        .size:           8
        .value_kind:     global_buffer
      - .offset:         16
        .size:           4
        .value_kind:     by_value
      - .offset:         20
        .size:           4
        .value_kind:     by_value
      - .offset:         24
        .size:           4
        .value_kind:     by_value
      - .offset:         28
        .size:           4
        .value_kind:     by_value
      - .offset:         32
        .size:           4
        .value_kind:     by_value
      - .offset:         36
        .size:           4
        .value_kind:     by_value
      - .offset:         40
        .size:           4
        .value_kind:     by_value
      - .offset:         44
        .size:           4
        .value_kind:     by_value
      - .offset:         48
        .size:           4
        .value_kind:     by_value
      - .offset:         52
        .size:           4
        .value_kind:     by_value
      - .address_space:  global
        .offset:         56
        .size:           8
        .value_kind:     global_buffer
      - .offset:         64
        .size:           4
        .value_kind:     by_value
      - .offset:         68
        .size:           4
        .value_kind:     by_value
      - .offset:         72
        .size:           4
        .value_kind:     by_value
      - .offset:         76
        .size:           8
        .value_kind:     by_value
      - .offset:         84
        .size:           4
        .value_kind:     by_value
      - .address_space:  global
        .offset:         88
        .size:           8
        .value_kind:     global_buffer
      - .address_space:  global
        .offset:         96
        .size:           8
        .value_kind:     global_buffer
      - .offset:         104
        .size:           4
        .value_kind:     by_value
      - .offset:         112
        .size:           4
        .value_kind:     hidden_block_count_x
      - .offset:         116
        .size:           4
        .value_kind:     hidden_block_count_y
      - .offset:         120
        .size:           4
        .value_kind:     hidden_block_count_z
      - .offset:         124
        .size:           2
        .value_kind:     hidden_group_size_x
      - .offset:         126
        .size:           2
        .value_kind:     hidden_group_size_y
      - .offset:         128
        .size:           2
        .value_kind:     hidden_group_size_z
      - .offset:         130
        .size:           2
        .value_kind:     hidden_remainder_x
      - .offset:         132
        .size:           2
        .value_kind:     hidden_remainder_y
      - .offset:         134
        .size:           2
        .value_kind:     hidden_remainder_z
      - .offset:         152
        .size:           8
        .value_kind:     hidden_global_offset_x
      - .offset:         160
        .size:           8
        .value_kind:     hidden_global_offset_y
      - .offset:         168
        .size:           8
        .value_kind:     hidden_global_offset_z
      - .offset:         176
        .size:           2
        .value_kind:     hidden_grid_dims
    .group_segment_fixed_size: 0
    .kernarg_segment_align: 8
    .kernarg_segment_size: 368
    .language:       OpenCL C
    .language_version:
      - 2
      - 0
    .max_flat_workgroup_size: 1024
    .name:           _ZL9rope_normILb0ELb1Ef6__halfEvPKT1_PT2_iiiiiiiiiiPKifff14rope_corr_dimsfPKfPKli
    .private_segment_fixed_size: 0
    .sgpr_count:     23
    .sgpr_spill_count: 0
    .symbol:         _ZL9rope_normILb0ELb1Ef6__halfEvPKT1_PT2_iiiiiiiiiiPKifff14rope_corr_dimsfPKfPKli.kd
    .uniform_work_group_size: 1
    .uses_dynamic_stack: false
    .vgpr_count:     23
    .vgpr_spill_count: 0
    .wavefront_size: 64
  - .args:
      - .address_space:  global
        .offset:         0
        .size:           8
        .value_kind:     global_buffer
      - .address_space:  global
        .offset:         8
        .size:           8
        .value_kind:     global_buffer
      - .offset:         16
        .size:           4
        .value_kind:     by_value
      - .offset:         20
        .size:           4
        .value_kind:     by_value
      - .offset:         24
        .size:           4
        .value_kind:     by_value
      - .offset:         28
        .size:           4
        .value_kind:     by_value
      - .offset:         32
        .size:           4
        .value_kind:     by_value
      - .offset:         36
        .size:           4
        .value_kind:     by_value
      - .offset:         40
        .size:           4
        .value_kind:     by_value
      - .offset:         44
        .size:           4
        .value_kind:     by_value
      - .offset:         48
        .size:           4
        .value_kind:     by_value
      - .offset:         52
        .size:           4
        .value_kind:     by_value
      - .address_space:  global
        .offset:         56
        .size:           8
        .value_kind:     global_buffer
      - .offset:         64
        .size:           4
        .value_kind:     by_value
      - .offset:         68
        .size:           4
        .value_kind:     by_value
      - .offset:         72
        .size:           4
        .value_kind:     by_value
      - .offset:         76
        .size:           8
        .value_kind:     by_value
      - .offset:         84
        .size:           4
        .value_kind:     by_value
      - .address_space:  global
        .offset:         88
        .size:           8
        .value_kind:     global_buffer
      - .address_space:  global
        .offset:         96
        .size:           8
        .value_kind:     global_buffer
      - .offset:         104
        .size:           4
        .value_kind:     by_value
      - .offset:         112
        .size:           4
        .value_kind:     hidden_block_count_x
      - .offset:         116
        .size:           4
        .value_kind:     hidden_block_count_y
      - .offset:         120
        .size:           4
        .value_kind:     hidden_block_count_z
      - .offset:         124
        .size:           2
        .value_kind:     hidden_group_size_x
      - .offset:         126
        .size:           2
        .value_kind:     hidden_group_size_y
      - .offset:         128
        .size:           2
        .value_kind:     hidden_group_size_z
      - .offset:         130
        .size:           2
        .value_kind:     hidden_remainder_x
      - .offset:         132
        .size:           2
        .value_kind:     hidden_remainder_y
      - .offset:         134
        .size:           2
        .value_kind:     hidden_remainder_z
      - .offset:         152
        .size:           8
        .value_kind:     hidden_global_offset_x
      - .offset:         160
        .size:           8
        .value_kind:     hidden_global_offset_y
      - .offset:         168
        .size:           8
        .value_kind:     hidden_global_offset_z
      - .offset:         176
        .size:           2
        .value_kind:     hidden_grid_dims
    .group_segment_fixed_size: 0
    .kernarg_segment_align: 8
    .kernarg_segment_size: 368
    .language:       OpenCL C
    .language_version:
      - 2
      - 0
    .max_flat_workgroup_size: 1024
    .name:           _ZL9rope_normILb0ELb0E6__halfS0_EvPKT1_PT2_iiiiiiiiiiPKifff14rope_corr_dimsfPKfPKli
    .private_segment_fixed_size: 0
    .sgpr_count:     26
    .sgpr_spill_count: 0
    .symbol:         _ZL9rope_normILb0ELb0E6__halfS0_EvPKT1_PT2_iiiiiiiiiiPKifff14rope_corr_dimsfPKfPKli.kd
    .uniform_work_group_size: 1
    .uses_dynamic_stack: false
    .vgpr_count:     23
    .vgpr_spill_count: 0
    .wavefront_size: 64
  - .args:
      - .address_space:  global
        .offset:         0
        .size:           8
        .value_kind:     global_buffer
      - .address_space:  global
        .offset:         8
        .size:           8
        .value_kind:     global_buffer
      - .offset:         16
        .size:           4
        .value_kind:     by_value
      - .offset:         20
        .size:           4
        .value_kind:     by_value
      - .offset:         24
        .size:           4
        .value_kind:     by_value
      - .offset:         28
        .size:           4
        .value_kind:     by_value
      - .offset:         32
        .size:           4
        .value_kind:     by_value
      - .offset:         36
        .size:           4
        .value_kind:     by_value
      - .offset:         40
        .size:           4
        .value_kind:     by_value
      - .offset:         44
        .size:           4
        .value_kind:     by_value
      - .offset:         48
        .size:           4
        .value_kind:     by_value
      - .offset:         52
        .size:           4
        .value_kind:     by_value
      - .address_space:  global
        .offset:         56
        .size:           8
        .value_kind:     global_buffer
      - .offset:         64
        .size:           4
        .value_kind:     by_value
      - .offset:         68
        .size:           4
        .value_kind:     by_value
      - .offset:         72
        .size:           4
        .value_kind:     by_value
      - .offset:         76
        .size:           8
        .value_kind:     by_value
      - .offset:         84
        .size:           4
        .value_kind:     by_value
      - .address_space:  global
        .offset:         88
        .size:           8
        .value_kind:     global_buffer
      - .address_space:  global
        .offset:         96
        .size:           8
        .value_kind:     global_buffer
      - .offset:         104
        .size:           4
        .value_kind:     by_value
      - .offset:         112
        .size:           4
        .value_kind:     hidden_block_count_x
      - .offset:         116
        .size:           4
        .value_kind:     hidden_block_count_y
      - .offset:         120
        .size:           4
        .value_kind:     hidden_block_count_z
      - .offset:         124
        .size:           2
        .value_kind:     hidden_group_size_x
      - .offset:         126
        .size:           2
        .value_kind:     hidden_group_size_y
      - .offset:         128
        .size:           2
        .value_kind:     hidden_group_size_z
      - .offset:         130
        .size:           2
        .value_kind:     hidden_remainder_x
      - .offset:         132
        .size:           2
        .value_kind:     hidden_remainder_y
      - .offset:         134
        .size:           2
        .value_kind:     hidden_remainder_z
      - .offset:         152
        .size:           8
        .value_kind:     hidden_global_offset_x
      - .offset:         160
        .size:           8
        .value_kind:     hidden_global_offset_y
      - .offset:         168
        .size:           8
        .value_kind:     hidden_global_offset_z
      - .offset:         176
        .size:           2
        .value_kind:     hidden_grid_dims
    .group_segment_fixed_size: 0
    .kernarg_segment_align: 8
    .kernarg_segment_size: 368
    .language:       OpenCL C
    .language_version:
      - 2
      - 0
    .max_flat_workgroup_size: 1024
    .name:           _ZL9rope_normILb0ELb1E6__halfS0_EvPKT1_PT2_iiiiiiiiiiPKifff14rope_corr_dimsfPKfPKli
    .private_segment_fixed_size: 0
    .sgpr_count:     23
    .sgpr_spill_count: 0
    .symbol:         _ZL9rope_normILb0ELb1E6__halfS0_EvPKT1_PT2_iiiiiiiiiiPKifff14rope_corr_dimsfPKfPKli.kd
    .uniform_work_group_size: 1
    .uses_dynamic_stack: false
    .vgpr_count:     23
    .vgpr_spill_count: 0
    .wavefront_size: 64
amdhsa.target:   amdgcn-amd-amdhsa--gfx906
amdhsa.version:
  - 1
  - 2
...

	.end_amdgpu_metadata
